;; amdgpu-corpus repo=ROCm/flash-attention kind=compiled arch=gfx942 opt=O3
	.text
	.amdgcn_target "amdgcn-amd-amdhsa--gfx942"
	.amdhsa_code_object_version 6
	.section	.text._ZN7ck_tileL11flush_cacheEv,"axG",@progbits,_ZN7ck_tileL11flush_cacheEv,comdat
	.globl	_ZN7ck_tileL11flush_cacheEv     ; -- Begin function _ZN7ck_tileL11flush_cacheEv
	.p2align	8
	.type	_ZN7ck_tileL11flush_cacheEv,@function
_ZN7ck_tileL11flush_cacheEv:            ; @_ZN7ck_tileL11flush_cacheEv
; %bb.0:
	;;#ASMSTART
	s_icache_inv 
	s_nop 0 
	s_nop 0 
	;; [unrolled: 1-line block ×16, first 2 shown]
	
	;;#ASMEND
	s_endpgm
	.section	.rodata,"a",@progbits
	.p2align	6, 0x0
	.amdhsa_kernel _ZN7ck_tileL11flush_cacheEv
		.amdhsa_group_segment_fixed_size 0
		.amdhsa_private_segment_fixed_size 0
		.amdhsa_kernarg_size 0
		.amdhsa_user_sgpr_count 0
		.amdhsa_user_sgpr_dispatch_ptr 0
		.amdhsa_user_sgpr_queue_ptr 0
		.amdhsa_user_sgpr_kernarg_segment_ptr 0
		.amdhsa_user_sgpr_dispatch_id 0
		.amdhsa_user_sgpr_kernarg_preload_length 0
		.amdhsa_user_sgpr_kernarg_preload_offset 0
		.amdhsa_user_sgpr_private_segment_size 0
		.amdhsa_uses_dynamic_stack 0
		.amdhsa_enable_private_segment 0
		.amdhsa_system_sgpr_workgroup_id_x 1
		.amdhsa_system_sgpr_workgroup_id_y 0
		.amdhsa_system_sgpr_workgroup_id_z 0
		.amdhsa_system_sgpr_workgroup_info 0
		.amdhsa_system_vgpr_workitem_id 0
		.amdhsa_next_free_vgpr 1
		.amdhsa_next_free_sgpr 0
		.amdhsa_accum_offset 4
		.amdhsa_reserve_vcc 0
		.amdhsa_float_round_mode_32 0
		.amdhsa_float_round_mode_16_64 0
		.amdhsa_float_denorm_mode_32 0
		.amdhsa_float_denorm_mode_16_64 3
		.amdhsa_dx10_clamp 1
		.amdhsa_ieee_mode 1
		.amdhsa_fp16_overflow 0
		.amdhsa_tg_split 0
		.amdhsa_exception_fp_ieee_invalid_op 0
		.amdhsa_exception_fp_denorm_src 0
		.amdhsa_exception_fp_ieee_div_zero 0
		.amdhsa_exception_fp_ieee_overflow 0
		.amdhsa_exception_fp_ieee_underflow 0
		.amdhsa_exception_fp_ieee_inexact 0
		.amdhsa_exception_int_div_zero 0
	.end_amdhsa_kernel
	.section	.text._ZN7ck_tileL11flush_cacheEv,"axG",@progbits,_ZN7ck_tileL11flush_cacheEv,comdat
.Lfunc_end0:
	.size	_ZN7ck_tileL11flush_cacheEv, .Lfunc_end0-_ZN7ck_tileL11flush_cacheEv
                                        ; -- End function
	.section	.AMDGPU.csdata,"",@progbits
; Kernel info:
; codeLenInByte = 140
; NumSgprs: 6
; NumVgprs: 0
; NumAgprs: 0
; TotalNumVgprs: 0
; ScratchSize: 0
; MemoryBound: 0
; FloatMode: 192
; IeeeMode: 1
; LDSByteSize: 0 bytes/workgroup (compile time only)
; SGPRBlocks: 0
; VGPRBlocks: 0
; NumSGPRsForWavesPerEU: 6
; NumVGPRsForWavesPerEU: 1
; AccumOffset: 4
; Occupancy: 8
; WaveLimiterHint : 0
; COMPUTE_PGM_RSRC2:SCRATCH_EN: 0
; COMPUTE_PGM_RSRC2:USER_SGPR: 0
; COMPUTE_PGM_RSRC2:TRAP_HANDLER: 0
; COMPUTE_PGM_RSRC2:TGID_X_EN: 1
; COMPUTE_PGM_RSRC2:TGID_Y_EN: 0
; COMPUTE_PGM_RSRC2:TGID_Z_EN: 0
; COMPUTE_PGM_RSRC2:TIDIG_COMP_CNT: 0
; COMPUTE_PGM_RSRC3_GFX90A:ACCUM_OFFSET: 0
; COMPUTE_PGM_RSRC3_GFX90A:TG_SPLIT: 0
	.text
	.p2align	2                               ; -- Begin function _ZNK7ck_tile13FmhaFwdKernelINS_28BlockFmhaPipelineQRKSVSAsyncINS_24BlockFmhaPipelineProblemIDF16_DF16_DF16_ffDF16_hfDF16_fDF16_NS_13TileFmhaShapeINS_8sequenceIJLi128ELi128ELi32ELi128ELi32ELi128EEEENS4_IJLi4ELi1ELi1EEEENS4_IJLi32ELi32ELi16EEEES6_S7_Lb1EEELb0ENS_17ComposedAttentionILj4ELb1EEENS_30SimplifiedGenericAttentionMaskILb1EEELb0ENS_14TileFmhaTraitsILb1ELb0ELb1ELb1ELb1ELNS_22BlockAttentionBiasEnumE0ELb0ELb1ELb1ELNS_28BlockAttentionQuantScaleEnumE0ELin1ELb0ELb0EEEEENS_35BlockFmhaPipelineQXKSVSCustomPolicyILb1ELb1ELi3ELi3EEEEENS_17Default2DEpilogueINS_24Default2DEpilogueProblemIfDF16_Lb1ELb1ELb1EEEvEEE4run_ENSP_21FmhaFwdBatchModeKargsE
	.type	_ZNK7ck_tile13FmhaFwdKernelINS_28BlockFmhaPipelineQRKSVSAsyncINS_24BlockFmhaPipelineProblemIDF16_DF16_DF16_ffDF16_hfDF16_fDF16_NS_13TileFmhaShapeINS_8sequenceIJLi128ELi128ELi32ELi128ELi32ELi128EEEENS4_IJLi4ELi1ELi1EEEENS4_IJLi32ELi32ELi16EEEES6_S7_Lb1EEELb0ENS_17ComposedAttentionILj4ELb1EEENS_30SimplifiedGenericAttentionMaskILb1EEELb0ENS_14TileFmhaTraitsILb1ELb0ELb1ELb1ELb1ELNS_22BlockAttentionBiasEnumE0ELb0ELb1ELb1ELNS_28BlockAttentionQuantScaleEnumE0ELin1ELb0ELb0EEEEENS_35BlockFmhaPipelineQXKSVSCustomPolicyILb1ELb1ELi3ELi3EEEEENS_17Default2DEpilogueINS_24Default2DEpilogueProblemIfDF16_Lb1ELb1ELb1EEEvEEE4run_ENSP_21FmhaFwdBatchModeKargsE,@function
_ZNK7ck_tile13FmhaFwdKernelINS_28BlockFmhaPipelineQRKSVSAsyncINS_24BlockFmhaPipelineProblemIDF16_DF16_DF16_ffDF16_hfDF16_fDF16_NS_13TileFmhaShapeINS_8sequenceIJLi128ELi128ELi32ELi128ELi32ELi128EEEENS4_IJLi4ELi1ELi1EEEENS4_IJLi32ELi32ELi16EEEES6_S7_Lb1EEELb0ENS_17ComposedAttentionILj4ELb1EEENS_30SimplifiedGenericAttentionMaskILb1EEELb0ENS_14TileFmhaTraitsILb1ELb0ELb1ELb1ELb1ELNS_22BlockAttentionBiasEnumE0ELb0ELb1ELb1ELNS_28BlockAttentionQuantScaleEnumE0ELin1ELb0ELb0EEEEENS_35BlockFmhaPipelineQXKSVSCustomPolicyILb1ELb1ELi3ELi3EEEEENS_17Default2DEpilogueINS_24Default2DEpilogueProblemIfDF16_Lb1ELb1ELb1EEEvEEE4run_ENSP_21FmhaFwdBatchModeKargsE: ; @_ZNK7ck_tile13FmhaFwdKernelINS_28BlockFmhaPipelineQRKSVSAsyncINS_24BlockFmhaPipelineProblemIDF16_DF16_DF16_ffDF16_hfDF16_fDF16_NS_13TileFmhaShapeINS_8sequenceIJLi128ELi128ELi32ELi128ELi32ELi128EEEENS4_IJLi4ELi1ELi1EEEENS4_IJLi32ELi32ELi16EEEES6_S7_Lb1EEELb0ENS_17ComposedAttentionILj4ELb1EEENS_30SimplifiedGenericAttentionMaskILb1EEELb0ENS_14TileFmhaTraitsILb1ELb0ELb1ELb1ELb1ELNS_22BlockAttentionBiasEnumE0ELb0ELb1ELb1ELNS_28BlockAttentionQuantScaleEnumE0ELin1ELb0ELb0EEEEENS_35BlockFmhaPipelineQXKSVSCustomPolicyILb1ELb1ELi3ELi3EEEEENS_17Default2DEpilogueINS_24Default2DEpilogueProblemIfDF16_Lb1ELb1ELb1EEEvEEE4run_ENSP_21FmhaFwdBatchModeKargsE
; %bb.0:
	s_waitcnt vmcnt(0) expcnt(0) lgkmcnt(0)
	s_or_saveexec_b64 s[0:1], -1
	scratch_store_dword off, v127, s32 offset:1572 ; 4-byte Folded Spill
	s_mov_b64 exec, s[0:1]
	scratch_store_dword off, v40, s32 offset:676 ; 4-byte Folded Spill
	scratch_store_dword off, v41, s32 offset:672 ; 4-byte Folded Spill
	;; [unrolled: 1-line block ×143, first 2 shown]
	v_writelane_b32 v127, s34, 0
	v_writelane_b32 v127, s35, 1
	;; [unrolled: 1-line block ×31, first 2 shown]
	s_nop 1
	v_writelane_b32 v127, s31, 31
	scratch_store_dword off, v24, s32 offset:1552 ; 4-byte Folded Spill
	scratch_store_dword off, v20, s32 offset:1548 ; 4-byte Folded Spill
	;; [unrolled: 1-line block ×3, first 2 shown]
	scratch_store_dwordx2 off, v[6:7], s32 offset:1556 ; 8-byte Folded Spill
	v_mov_b32_e32 v53, v13
	v_mov_b32_e32 v67, v11
	v_accvgpr_write_b32 a71, v10
	scratch_load_dword v115, off, s32 offset:52
	scratch_load_dword v114, off, s32 offset:48
	;; [unrolled: 1-line block ×7, first 2 shown]
	scratch_load_dword v6, off, s32
	scratch_load_dword v33, off, s32 offset:104
	scratch_load_dword v32, off, s32 offset:100
	scratch_load_dword v37, off, s32 offset:96
	scratch_load_dword v36, off, s32 offset:92
	scratch_load_dword v20, off, s32 offset:72
	scratch_load_dword v24, off, s32 offset:68
	scratch_load_dword v48, off, s32 offset:64
	scratch_load_dword v49, off, s32 offset:60
	scratch_load_dword v13, off, s32 offset:56
	v_add_u32_e32 v52, 0x7f, v53
	v_mov_b32_e32 v65, v53
	v_ashrrev_i32_e32 v53, 31, v52
	v_lshrrev_b32_e32 v53, 25, v53
	v_add_u32_e32 v52, v52, v53
	v_ashrrev_i32_e32 v52, 7, v52
	v_sub_u32_e32 v53, 0, v52
	v_max_i32_e32 v53, v52, v53
	v_cvt_f32_u32_e32 v54, v53
	v_sub_u32_e32 v55, 0, v53
	s_abs_i32 s0, s13
	v_rcp_iflag_f32_e32 v54, v54
	s_nop 0
	v_mul_f32_e32 v54, 0x4f7ffffe, v54
	v_cvt_u32_f32_e32 v54, v54
	v_mul_lo_u32 v55, v55, v54
	v_mul_hi_u32 v55, v54, v55
	v_add_u32_e32 v54, v54, v55
	v_mul_hi_u32 v54, s0, v54
	v_mul_lo_u32 v55, v54, v53
	v_sub_u32_e32 v55, s0, v55
	v_add_u32_e32 v64, 1, v54
	v_cmp_ge_u32_e32 vcc, v55, v53
	s_waitcnt vmcnt(0)
	scratch_store_dword off, v13, s32 offset:1092 ; 4-byte Folded Spill
	scratch_load_ubyte v18, off, s32 offset:44
	scratch_load_ubyte v126, off, s32 offset:40
	scratch_load_dword v92, off, s32 offset:36
	scratch_load_ubyte v38, off, s32 offset:32
	s_nop 0
	scratch_load_dword v13, off, s32 offset:12
	scratch_load_dword v29, off, s32 offset:8
	;; [unrolled: 1-line block ×3, first 2 shown]
	v_cndmask_b32_e32 v54, v54, v64, vcc
	v_sub_u32_e32 v64, v55, v53
	v_cndmask_b32_e32 v55, v55, v64, vcc
	v_add_u32_e32 v64, 1, v54
	v_cmp_ge_u32_e32 vcc, v55, v53
	s_waitcnt vmcnt(0)
	scratch_store_dword off, v39, s32 offset:1564 ; 4-byte Folded Spill
	scratch_load_dword v51, off, s32 offset:84
	scratch_load_dword v50, off, s32 offset:80
	s_nop 0
	scratch_load_dword v39, off, s32 offset:76
	s_load_dword s0, s[8:9], 0x4
	s_load_dword s1, s[8:9], 0x14
	v_cndmask_b32_e32 v53, v54, v64, vcc
	v_xor_b32_e32 v54, s13, v52
	v_ashrrev_i32_e32 v54, 31, v54
	v_xor_b32_e32 v53, v53, v54
	v_sub_u32_e32 v53, v53, v54
	v_mul_lo_u32 v52, v53, v52
	v_not_b32_e32 v53, v53
	s_waitcnt lgkmcnt(0)
	v_mov_b32_e32 v54, s0
	v_cmp_ne_u16_e64 vcc, s1, 0
	v_sub_u32_e32 v52, s13, v52
	v_lshlrev_b32_e32 v52, 7, v52
	v_addc_co_u32_e32 v53, vcc, v53, v54, vcc
	v_lshlrev_b32_e32 v53, 7, v53
	v_readfirstlane_b32 s42, v52
	v_readfirstlane_b32 s18, v53
	v_cmp_ne_u64_e32 vcc, 0, v[8:9]
	v_mov_b32_e32 v52, 0xff800000
	s_and_saveexec_b64 s[0:1], vcc
	s_cbranch_execz .LBB1_2
; %bb.1:
	s_ashr_i32 s13, s12, 31
	v_lshl_add_u64 v[8:9], s[12:13], 2, v[8:9]
	flat_load_dword v8, v[8:9]
	s_waitcnt vmcnt(0) lgkmcnt(0)
	v_div_scale_f32 v9, s[2:3], v16, v16, v8
	v_rcp_f32_e32 v52, v9
	v_div_scale_f32 v53, vcc, v8, v16, v8
	s_setreg_imm32_b32 hwreg(HW_REG_MODE, 4, 2), 3
	v_fma_f32 v54, -v9, v52, 1.0
	v_fmac_f32_e32 v52, v54, v52
	v_mul_f32_e32 v54, v53, v52
	v_fma_f32 v55, -v9, v54, v53
	v_fmac_f32_e32 v54, v55, v52
	v_fma_f32 v9, -v9, v54, v53
	s_setreg_imm32_b32 hwreg(HW_REG_MODE, 4, 2), 0
	v_div_fmas_f32 v9, v9, v52, v54
	v_div_fixup_f32 v52, v9, v16, v8
.LBB1_2:
	s_or_b64 exec, exec, s[0:1]
	s_ashr_i32 s15, s14, 31
	v_cmp_ne_u64_e32 vcc, 0, v[36:37]
	s_and_saveexec_b64 s[0:1], vcc
	s_cbranch_execz .LBB1_4
; %bb.3:
	v_lshl_add_u64 v[8:9], s[14:15], 2, v[36:37]
	flat_load_dwordx2 v[8:9], v[8:9]
	s_waitcnt vmcnt(0) lgkmcnt(0)
	v_sub_u32_e32 v8, v9, v8
	v_accvgpr_write_b32 a71, v8
.LBB1_4:
	s_or_b64 exec, exec, s[0:1]
	v_cmp_ne_u64_e32 vcc, 0, v[32:33]
	s_and_saveexec_b64 s[0:1], vcc
	s_cbranch_execz .LBB1_6
; %bb.5:
	v_lshl_add_u64 v[8:9], s[14:15], 2, v[32:33]
	flat_load_dwordx2 v[8:9], v[8:9]
	s_waitcnt vmcnt(0) lgkmcnt(0)
	v_sub_u32_e32 v67, v9, v8
.LBB1_6:
	s_or_b64 exec, exec, s[0:1]
	v_sub_u32_e32 v8, 0, v15
	v_max_i32_e32 v53, v15, v8
	v_cvt_f32_u32_e32 v8, v53
	v_rcp_iflag_f32_e32 v8, v8
	s_nop 0
	v_mul_f32_e32 v8, 0x4f7ffffe, v8
	v_cvt_u32_f32_e32 v54, v8
	v_and_b32_e32 v8, 1, v38
	v_cmp_eq_u32_e32 vcc, 1, v8
	s_xor_b64 s[0:1], vcc, -1
	s_and_saveexec_b64 s[2:3], s[0:1]
	s_cbranch_execz .LBB1_8
; %bb.7:
	flat_load_dwordx2 v[34:35], v[34:35]
.LBB1_8:
	s_or_b64 exec, exec, s[2:3]
	s_and_saveexec_b64 s[2:3], s[0:1]
	s_cbranch_execz .LBB1_10
; %bb.9:
	flat_load_dwordx2 v[10:11], v[10:11]
.LBB1_10:
	s_or_b64 exec, exec, s[2:3]
	v_mad_i64_i32 v[8:9], s[0:1], v21, s12, 0
	s_waitcnt vmcnt(0)
	v_mad_i64_i32 v[32:33], s[0:1], v39, s14, 0
	v_lshl_add_u64 v[0:1], v[8:9], 1, v[0:1]
	v_cmp_lt_i32_e32 vcc, 0, v25
	v_lshl_add_u64 v[32:33], v[32:33], 1, v[0:1]
	v_add_u32_e32 v1, s12, v26
	v_cndmask_b32_e32 v0, v14, v25, vcc
	v_mul_lo_u32 v0, v0, s14
	v_add_lshl_u32 v0, v1, v0, 6
	v_ashrrev_i32_e32 v1, 31, v0
	s_waitcnt lgkmcnt(0)
	v_lshl_add_u64 v[0:1], v[10:11], 0, v[0:1]
	s_mov_b32 s0, 0
	v_readfirstlane_b32 s8, v0
	v_and_b32_e32 v0, 0x3c0, v31
	s_mov_b32 s1, -1
	v_mov_b32_e32 v8, 0
	v_mov_b32_e32 v9, v12
	v_lshrrev_b32_e32 v0, 6, v0
	v_mov_b32_e32 v64, v8
	v_lshl_add_u64 v[8:9], v[8:9], 0, s[0:1]
	scratch_store_dword off, v0, s32 offset:1072 ; 4-byte Folded Spill
	v_readfirstlane_b32 s0, v0
	v_mbcnt_lo_u32_b32 v0, -1, 0
	v_mbcnt_hi_u32_b32 v0, -1, v0
	v_and_b32_e32 v38, 31, v0
	v_readfirstlane_b32 s9, v1
	v_lshrrev_b32_e32 v14, 5, v0
	v_add_u32_e32 v1, s18, v38
	v_accvgpr_read_b32 v39, a71
	v_lshlrev_b32_e32 v10, 3, v14
	scratch_store_dword off, v1, s32 offset:1080 ; 4-byte Folded Spill
	v_lshl_add_u32 v1, s0, 5, v1
	v_add_u32_e32 v55, -1, v39
	v_ashrrev_i32_e32 v37, 31, v9
	v_mov_b32_e32 v36, v9
	v_readfirstlane_b32 s13, v34
	v_readfirstlane_b32 s15, v35
	v_mad_u64_u32 v[34:35], s[0:1], v1, v17, v[10:11]
	v_mul_lo_u32 v21, v17, v55
	v_lshl_add_u64 v[8:9], v[36:37], 0, 1
	v_cmp_gt_i32_e64 s[0:1], v12, v10
	v_cmp_gt_i32_e32 vcc, v39, v1
	v_add_lshl_u32 v9, v21, v8, 1
	s_and_b64 s[0:1], vcc, s[0:1]
	v_lshlrev_b32_e32 v1, 1, v34
	v_mov_b32_e32 v34, 0
	v_mov_b32_e32 v35, 0
	;; [unrolled: 1-line block ×4, first 2 shown]
	scratch_store_dwordx4 off, v[34:37], s32 offset:1304 ; 16-byte Folded Spill
	s_and_saveexec_b64 s[10:11], s[0:1]
	s_cbranch_execz .LBB1_14
; %bb.11:
	s_mov_b32 s0, 0x3020104
	v_mov_b32_e32 v37, 0x20000
	v_perm_b32 v36, v9, v9, s0
	s_mov_b64 s[16:17], exec
.LBB1_12:                               ; =>This Inner Loop Header: Depth=1
	v_readfirstlane_b32 s4, v32
	v_readfirstlane_b32 s5, v33
	;; [unrolled: 1-line block ×4, first 2 shown]
	v_cmp_eq_u64_e64 s[0:1], s[4:5], v[32:33]
	s_nop 0
	v_cmp_eq_u64_e64 s[2:3], s[6:7], v[36:37]
	s_and_b64 s[0:1], s[0:1], s[2:3]
	s_and_saveexec_b64 s[0:1], s[0:1]
	buffer_load_dwordx4 v[34:37], v1, s[4:7], 0 offen
	s_waitcnt vmcnt(0)
	scratch_store_dwordx4 off, v[34:37], s32 offset:1304 ; 16-byte Folded Spill
                                        ; implicit-def: $vgpr34_vgpr35_vgpr36_vgpr37
	s_xor_b64 exec, exec, s[0:1]
	s_cbranch_execnz .LBB1_12
; %bb.13:
	s_mov_b64 exec, s[16:17]
.LBB1_14:
	s_or_b64 exec, exec, s[10:11]
	v_add_u32_e32 v11, 16, v10
	v_cmp_gt_i32_e64 s[0:1], v12, v11
	s_and_b64 s[0:1], vcc, s[0:1]
	v_mov_b32_e32 v34, v64
	v_mov_b32_e32 v35, 0
	;; [unrolled: 1-line block ×4, first 2 shown]
	;;#ASMSTART
	;;#ASMEND
	scratch_store_dwordx4 off, v[34:37], s32 offset:1320 ; 16-byte Folded Spill
	s_and_saveexec_b64 s[10:11], s[0:1]
	s_cbranch_execz .LBB1_18
; %bb.15:
	s_mov_b32 s0, 0x3020104
	v_mov_b32_e32 v37, 0x20000
	v_perm_b32 v36, v9, v9, s0
	s_mov_b64 s[16:17], exec
.LBB1_16:                               ; =>This Inner Loop Header: Depth=1
	v_readfirstlane_b32 s4, v32
	v_readfirstlane_b32 s5, v33
	v_readfirstlane_b32 s6, v36
	v_readfirstlane_b32 s7, v37
	v_cmp_eq_u64_e64 s[0:1], s[4:5], v[32:33]
	s_nop 0
	v_cmp_eq_u64_e64 s[2:3], s[6:7], v[36:37]
	s_and_b64 s[0:1], s[0:1], s[2:3]
	s_and_saveexec_b64 s[0:1], s[0:1]
	buffer_load_dwordx4 v[34:37], v1, s[4:7], 0 offen offset:32
	s_waitcnt vmcnt(0)
	scratch_store_dwordx4 off, v[34:37], s32 offset:1320 ; 16-byte Folded Spill
                                        ; implicit-def: $vgpr34_vgpr35_vgpr36_vgpr37
	s_xor_b64 exec, exec, s[0:1]
	s_cbranch_execnz .LBB1_16
; %bb.17:
	s_mov_b64 exec, s[16:17]
.LBB1_18:
	s_or_b64 exec, exec, s[10:11]
	v_or_b32_e32 v11, 32, v10
	v_cmp_gt_i32_e64 s[0:1], v12, v11
	s_and_b64 s[0:1], vcc, s[0:1]
	v_mov_b32_e32 v34, 0
	v_mov_b32_e32 v35, 0
	;; [unrolled: 1-line block ×4, first 2 shown]
	;;#ASMSTART
	;;#ASMEND
	scratch_store_dwordx4 off, v[34:37], s32 offset:1352 ; 16-byte Folded Spill
	s_and_saveexec_b64 s[10:11], s[0:1]
	s_cbranch_execz .LBB1_22
; %bb.19:
	s_mov_b32 s0, 0x3020104
	v_mov_b32_e32 v37, 0x20000
	v_perm_b32 v36, v9, v9, s0
	s_mov_b64 s[16:17], exec
.LBB1_20:                               ; =>This Inner Loop Header: Depth=1
	v_readfirstlane_b32 s4, v32
	v_readfirstlane_b32 s5, v33
	;; [unrolled: 1-line block ×4, first 2 shown]
	v_cmp_eq_u64_e64 s[0:1], s[4:5], v[32:33]
	s_nop 0
	v_cmp_eq_u64_e64 s[2:3], s[6:7], v[36:37]
	s_and_b64 s[0:1], s[0:1], s[2:3]
	s_and_saveexec_b64 s[0:1], s[0:1]
	buffer_load_dwordx4 v[34:37], v1, s[4:7], 0 offen offset:64
	s_waitcnt vmcnt(0)
	scratch_store_dwordx4 off, v[34:37], s32 offset:1352 ; 16-byte Folded Spill
                                        ; implicit-def: $vgpr34_vgpr35_vgpr36_vgpr37
	s_xor_b64 exec, exec, s[0:1]
	s_cbranch_execnz .LBB1_20
; %bb.21:
	s_mov_b64 exec, s[16:17]
.LBB1_22:
	s_or_b64 exec, exec, s[10:11]
	v_add_u32_e32 v11, 48, v10
	v_cmp_gt_i32_e64 s[0:1], v12, v11
	s_and_b64 s[0:1], vcc, s[0:1]
	v_mov_b32_e32 v34, 0
	v_mov_b32_e32 v35, 0
	v_mov_b32_e32 v36, 0
	v_mov_b32_e32 v37, 0
	;;#ASMSTART
	;;#ASMEND
	scratch_store_dwordx4 off, v[34:37], s32 offset:1336 ; 16-byte Folded Spill
	s_and_saveexec_b64 s[10:11], s[0:1]
	s_cbranch_execz .LBB1_26
; %bb.23:
	s_mov_b32 s0, 0x3020104
	v_mov_b32_e32 v37, 0x20000
	v_perm_b32 v36, v9, v9, s0
	s_mov_b64 s[16:17], exec
.LBB1_24:                               ; =>This Inner Loop Header: Depth=1
	v_readfirstlane_b32 s4, v32
	v_readfirstlane_b32 s5, v33
	;; [unrolled: 1-line block ×4, first 2 shown]
	v_cmp_eq_u64_e64 s[0:1], s[4:5], v[32:33]
	s_nop 0
	v_cmp_eq_u64_e64 s[2:3], s[6:7], v[36:37]
	s_and_b64 s[0:1], s[0:1], s[2:3]
	s_and_saveexec_b64 s[0:1], s[0:1]
	buffer_load_dwordx4 v[34:37], v1, s[4:7], 0 offen offset:96
	s_waitcnt vmcnt(0)
	scratch_store_dwordx4 off, v[34:37], s32 offset:1336 ; 16-byte Folded Spill
                                        ; implicit-def: $vgpr34_vgpr35_vgpr36_vgpr37
	s_xor_b64 exec, exec, s[0:1]
	s_cbranch_execnz .LBB1_24
; %bb.25:
	s_mov_b64 exec, s[16:17]
.LBB1_26:
	s_or_b64 exec, exec, s[10:11]
	v_or_b32_e32 v11, 64, v10
	v_cmp_gt_i32_e64 s[0:1], v12, v11
	s_and_b64 s[0:1], vcc, s[0:1]
	v_mov_b32_e32 v80, 0
	v_mov_b32_e32 v84, 0
	;; [unrolled: 1-line block ×5, first 2 shown]
	;;#ASMSTART
	;;#ASMEND
	s_and_saveexec_b64 s[10:11], s[0:1]
	s_cbranch_execz .LBB1_30
; %bb.27:
	s_mov_b32 s0, 0x3020104
	v_mov_b32_e32 v37, 0x20000
	v_perm_b32 v36, v9, v9, s0
	s_mov_b64 s[16:17], exec
.LBB1_28:                               ; =>This Inner Loop Header: Depth=1
	v_readfirstlane_b32 s4, v32
	v_readfirstlane_b32 s5, v33
	;; [unrolled: 1-line block ×4, first 2 shown]
	v_cmp_eq_u64_e64 s[0:1], s[4:5], v[32:33]
	s_nop 0
	v_cmp_eq_u64_e64 s[2:3], s[6:7], v[36:37]
	s_and_b64 s[0:1], s[0:1], s[2:3]
	s_and_saveexec_b64 s[0:1], s[0:1]
	buffer_load_dwordx4 v[84:87], v1, s[4:7], 0 offen offset:128
                                        ; implicit-def: $vgpr34_vgpr35_vgpr36_vgpr37
	s_xor_b64 exec, exec, s[0:1]
	s_cbranch_execnz .LBB1_28
; %bb.29:
	s_mov_b64 exec, s[16:17]
.LBB1_30:
	s_or_b64 exec, exec, s[10:11]
	v_add_u32_e32 v11, 0x50, v10
	v_cmp_gt_i32_e64 s[0:1], v12, v11
	s_and_b64 s[0:1], vcc, s[0:1]
	v_mov_b32_e32 v81, 0
	v_mov_b32_e32 v82, 0
	;; [unrolled: 1-line block ×3, first 2 shown]
	;;#ASMSTART
	;;#ASMEND
	s_and_saveexec_b64 s[10:11], s[0:1]
	s_cbranch_execz .LBB1_34
; %bb.31:
	s_mov_b32 s0, 0x3020104
	v_mov_b32_e32 v37, 0x20000
	v_perm_b32 v36, v9, v9, s0
	s_mov_b64 s[16:17], exec
.LBB1_32:                               ; =>This Inner Loop Header: Depth=1
	v_readfirstlane_b32 s4, v32
	v_readfirstlane_b32 s5, v33
	;; [unrolled: 1-line block ×4, first 2 shown]
	v_cmp_eq_u64_e64 s[0:1], s[4:5], v[32:33]
	s_nop 0
	v_cmp_eq_u64_e64 s[2:3], s[6:7], v[36:37]
	s_and_b64 s[0:1], s[0:1], s[2:3]
	s_and_saveexec_b64 s[0:1], s[0:1]
	buffer_load_dwordx4 v[80:83], v1, s[4:7], 0 offen offset:160
                                        ; implicit-def: $vgpr34_vgpr35_vgpr36_vgpr37
	s_xor_b64 exec, exec, s[0:1]
	s_cbranch_execnz .LBB1_32
; %bb.33:
	s_mov_b64 exec, s[16:17]
.LBB1_34:
	s_or_b64 exec, exec, s[10:11]
	v_or_b32_e32 v11, 0x60, v10
	v_cmp_gt_i32_e64 s[0:1], v12, v11
	s_and_b64 s[0:1], vcc, s[0:1]
	v_mov_b32_e32 v100, 0
	v_mov_b32_e32 v96, 0
	;; [unrolled: 1-line block ×5, first 2 shown]
	;;#ASMSTART
	;;#ASMEND
	s_and_saveexec_b64 s[10:11], s[0:1]
	s_cbranch_execz .LBB1_38
; %bb.35:
	s_mov_b32 s0, 0x3020104
	v_mov_b32_e32 v37, 0x20000
	v_perm_b32 v36, v9, v9, s0
	s_mov_b64 s[16:17], exec
.LBB1_36:                               ; =>This Inner Loop Header: Depth=1
	v_readfirstlane_b32 s4, v32
	v_readfirstlane_b32 s5, v33
	;; [unrolled: 1-line block ×4, first 2 shown]
	v_cmp_eq_u64_e64 s[0:1], s[4:5], v[32:33]
	s_nop 0
	v_cmp_eq_u64_e64 s[2:3], s[6:7], v[36:37]
	s_and_b64 s[0:1], s[0:1], s[2:3]
	s_and_saveexec_b64 s[0:1], s[0:1]
	buffer_load_dwordx4 v[96:99], v1, s[4:7], 0 offen offset:192
                                        ; implicit-def: $vgpr34_vgpr35_vgpr36_vgpr37
	s_xor_b64 exec, exec, s[0:1]
	s_cbranch_execnz .LBB1_36
; %bb.37:
	s_mov_b64 exec, s[16:17]
.LBB1_38:
	s_or_b64 exec, exec, s[10:11]
	v_add_u32_e32 v10, 0x70, v10
	v_cmp_gt_i32_e64 s[0:1], v12, v10
	s_and_b64 s[0:1], vcc, s[0:1]
	s_mov_b32 s38, 0
	v_mov_b32_e32 v101, 0
	v_mov_b32_e32 v102, 0
	;; [unrolled: 1-line block ×3, first 2 shown]
	;;#ASMSTART
	;;#ASMEND
	s_and_saveexec_b64 s[2:3], s[0:1]
	s_cbranch_execz .LBB1_42
; %bb.39:
	s_mov_b32 s0, 0x3020104
	v_mov_b32_e32 v35, 0x20000
	v_perm_b32 v34, v9, v9, s0
	s_mov_b64 s[10:11], exec
.LBB1_40:                               ; =>This Inner Loop Header: Depth=1
	v_readfirstlane_b32 s4, v32
	v_readfirstlane_b32 s5, v33
	;; [unrolled: 1-line block ×4, first 2 shown]
	v_cmp_eq_u64_e32 vcc, s[4:5], v[32:33]
	s_nop 0
	v_cmp_eq_u64_e64 s[0:1], s[6:7], v[34:35]
	s_and_b64 s[0:1], vcc, s[0:1]
	s_and_saveexec_b64 s[0:1], s[0:1]
	buffer_load_dwordx4 v[100:103], v1, s[4:7], 0 offen offset:224
                                        ; implicit-def: $vgpr32_vgpr33_vgpr34_vgpr35
                                        ; implicit-def: $vgpr1
	s_xor_b64 exec, exec, s[0:1]
	s_cbranch_execnz .LBB1_40
; %bb.41:
	s_mov_b64 exec, s[10:11]
.LBB1_42:
	s_or_b64 exec, exec, s[2:3]
	v_add_u32_e32 v10, -1, v67
	v_cmp_eq_u32_e32 vcc, 1, v30
	s_mov_b32 s39, -1
	v_cmp_gt_i32_e64 s[0:1], 0, v27
	v_cndmask_b32_e32 v1, v10, v55, vcc
	v_mov_b32_e32 v64, 0
	v_cndmask_b32_e64 v1, v27, v1, s[0:1]
	v_accvgpr_read_b32 v12, a71
	v_lshl_add_u64 v[26:27], v[64:65], 0, s[38:39]
	v_sub_u32_e32 v11, v67, v12
	v_ashrrev_i32_e32 v31, 31, v27
	v_mov_b32_e32 v30, v27
	v_cndmask_b32_e32 v9, v55, v10, vcc
	v_cmp_gt_i32_e64 s[0:1], 0, v28
	v_add_u32_e32 v11, 1, v11
	v_sub_u32_e32 v12, v12, v67
	v_lshl_add_u64 v[26:27], v[30:31], 0, 1
	v_cndmask_b32_e64 v9, v28, v9, s[0:1]
	v_add_u32_e32 v12, 1, v12
	v_cndmask_b32_e64 v11, v11, 1, vcc
	scratch_store_dwordx2 off, v[26:27], s32 offset:1540 ; 8-byte Folded Spill
	v_mad_i64_i32 v[26:27], s[0:1], v29, s12, 0
	v_add_u32_e32 v11, v9, v11
	v_cndmask_b32_e64 v9, v12, 1, vcc
	v_mad_i64_i32 v[12:13], s[0:1], v13, s14, 0
	v_lshl_add_u64 v[6:7], v[26:27], 2, v[6:7]
	s_mov_b32 s43, 1
	v_add_u32_e32 v1, v1, v9
	v_lshl_add_u64 v[6:7], v[12:13], 2, v[6:7]
	scratch_store_dword off, v55, s32 offset:1512 ; 4-byte Folded Spill
	scratch_store_dwordx2 off, v[64:65], s32 offset:1516 ; 8-byte Folded Spill
	scratch_store_dwordx4 off, v[6:9], s32 offset:1524 ; 16-byte Folded Spill
	;;#ASMSTART
	;;#ASMEND
	; sched_barrier mask(0x00000000)
	; sched_barrier mask(0x00000000)
	scratch_store_dword off, v1, s32 offset:1292 ; 4-byte Folded Spill
	v_sub_u32_e32 v1, s18, v1
	v_max_i32_e32 v1, -1, v1
	v_add_u32_e32 v1, 1, v1
	v_and_b32_e32 v55, 0xffffff80, v1
	v_add_u32_e32 v1, s18, v11
	v_add_u32_e32 v6, 0x7f, v1
	v_min_i32_e32 v6, v6, v67
	v_add_u32_e32 v6, 0x7f, v6
	v_ashrrev_i32_e32 v7, 31, v6
	v_lshrrev_b32_e32 v7, 25, v7
	v_add_u32_e32 v6, v6, v7
	v_and_b32_e32 v6, 0xffffff80, v6
	v_sub_u32_e32 v6, v6, v55
	s_movk_i32 s0, 0x7f
	v_or_b32_e32 v6, 0x7f, v6
	v_cmp_lt_i32_e32 vcc, s0, v6
	scratch_store_dword off, v11, s32 offset:1456 ; 4-byte Folded Spill
                                        ; implicit-def: $vgpr9
                                        ; implicit-def: $vgpr59
                                        ; implicit-def: $vgpr61
                                        ; implicit-def: $vgpr11
                                        ; implicit-def: $vgpr25
                                        ; implicit-def: $vgpr21
                                        ; implicit-def: $vgpr29
                                        ; implicit-def: $vgpr63
                                        ; implicit-def: $vgpr107
                                        ; implicit-def: $vgpr105
                                        ; implicit-def: $vgpr111
                                        ; implicit-def: $vgpr109
                                        ; implicit-def: $vgpr113
                                        ; implicit-def: $vgpr123
                                        ; implicit-def: $vgpr119
                                        ; implicit-def: $vgpr117
                                        ; implicit-def: $vgpr43
                                        ; implicit-def: $vgpr41
                                        ; implicit-def: $vgpr47
                                        ; implicit-def: $vgpr45
                                        ; implicit-def: $vgpr7
                                        ; implicit-def: $vgpr57
                                        ; implicit-def: $vgpr27
                                        ; implicit-def: $vgpr13
                                        ; implicit-def: $vgpr33
                                        ; implicit-def: $vgpr31
                                        ; implicit-def: $vgpr37
                                        ; implicit-def: $vgpr35
                                        ; implicit-def: $vgpr91
                                        ; implicit-def: $vgpr39
                                        ; implicit-def: $vgpr95
                                        ; implicit-def: $vgpr93
                                        ; implicit-def: $vgpr12
                                        ; kill: killed $vgpr12
	s_and_saveexec_b64 s[0:1], vcc
	s_xor_b64 s[36:37], exec, s[0:1]
	s_cbranch_execz .LBB1_92
; %bb.43:
	scratch_load_dwordx2 v[28:29], off, s32 offset:1516 ; 8-byte Folded Reload
	v_sub_u32_e32 v7, 0, v53
	v_mul_lo_u32 v7, v7, v54
	v_mul_hi_u32 v7, v54, v7
	s_abs_i32 s2, s12
	v_add_u32_e32 v7, v54, v7
	v_mad_u64_u32 v[12:13], s[0:1], s2, v7, 0
	v_ashrrev_i32_e32 v7, 31, v6
	v_lshrrev_b32_e32 v7, 25, v7
	v_add_u32_e32 v6, v6, v7
	s_mov_b32 s38, 0
	v_ashrrev_i32_e32 v21, 7, v6
	v_ashrrev_i32_e32 v9, 31, v15
	s_ashr_i32 s3, s12, 31
	v_mul_lo_u32 v12, v19, v10
	v_mov_b32_e32 v95, 0xff800000
	v_mul_f32_e32 v93, 0x3fb8aa3b, v24
	v_accvgpr_write_b32 a15, 0
	v_accvgpr_write_b32 a14, 0
	;; [unrolled: 1-line block ×62, first 2 shown]
	s_waitcnt vmcnt(0)
	v_mov_b32_e32 v66, v28
	v_lshl_add_u64 v[6:7], v[66:67], 0, s[38:39]
	scratch_load_dword v6, off, s32 offset:1512 ; 4-byte Folded Reload
	scratch_load_dword v11, off, s32 offset:1092 ; 4-byte Folded Reload
	;; [unrolled: 1-line block ×3, first 2 shown]
	v_accvgpr_write_b32 a49, 0
	v_accvgpr_write_b32 a48, 0
	s_mov_b32 s39, 0xff800000
	s_waitcnt vmcnt(1)
	v_mul_lo_u32 v6, v11, v6
	v_add3_u32 v26, v7, v6, 1
	v_mad_i64_i32 v[6:7], s[0:1], v49, s12, v[114:115]
	v_mad_i64_i32 v[116:117], s[0:1], v48, s14, v[6:7]
	v_mul_lo_u32 v7, v13, v53
	v_mul_f32_e32 v6, 0x3f317218, v16
	v_sub_u32_e32 v7, s2, v7
	v_mul_f32_e32 v94, v6, v20
	v_xor_b32_e32 v6, s3, v9
	v_add_u32_e32 v9, 1, v13
	v_cmp_ge_u32_e32 vcc, v7, v53
	v_sub_u32_e32 v11, v7, v53
	s_nop 0
	v_cndmask_b32_e32 v9, v13, v9, vcc
	v_cndmask_b32_e32 v7, v7, v11, vcc
	v_add_u32_e32 v11, 1, v9
	v_cmp_ge_u32_e32 vcc, v7, v53
	s_nop 1
	v_cndmask_b32_e32 v7, v9, v11, vcc
	v_xor_b32_e32 v7, v7, v6
	v_sub_u32_e32 v9, v7, v6
	v_mad_i64_i32 v[6:7], s[0:1], v9, v22, 0
	v_lshl_add_u64 v[2:3], v[6:7], 1, v[2:3]
	v_mad_i64_i32 v[6:7], s[0:1], v9, v23, 0
	v_lshl_add_u64 v[4:5], v[6:7], 1, v[4:5]
	s_waitcnt vmcnt(0)
	v_mul_lo_u32 v9, v15, v10
	v_mad_i64_i32 v[6:7], s[0:1], v51, s14, 0
	v_mad_i64_i32 v[10:11], s[0:1], v50, s14, 0
	s_mov_b32 s0, 0x7f800000
	s_nop 0
	v_cmp_neq_f32_e64 s[0:1], |v52|, s0
	v_cmp_lt_i32_e32 vcc, -1, v52
	v_lshl_add_u64 v[22:23], v[6:7], 1, v[4:5]
	s_or_b64 vcc, s[0:1], vcc
	v_mul_f32_e32 v4, 0x3fb8aa3b, v52
	v_lshl_add_u64 v[2:3], v[10:11], 1, v[2:3]
	v_cndmask_b32_e64 v48, 0, 1.0, vcc
	v_cndmask_b32_e32 v52, v95, v4, vcc
	; sched_barrier mask(0x00000000)
	scratch_load_dword v13, off, s32 offset:1072 ; 4-byte Folded Reload
	v_lshlrev_b32_e32 v6, 1, v0
	v_lshrrev_b32_e32 v7, 2, v0
	v_and_b32_e32 v10, 30, v6
	v_add_lshl_u32 v4, v9, v8, 1
	v_and_b32_e32 v8, 28, v7
	scratch_store_dword off, v8, s32 offset:1460 ; 4-byte Folded Spill
	v_mov_b32_e32 v16, v10
	scratch_store_dwordx2 off, v[16:17], s32 offset:1496 ; 8-byte Folded Spill
	v_lshrrev_b32_e32 v9, 6, v0
	scratch_store_dword off, v9, s32 offset:1096 ; 4-byte Folded Spill
	v_mov_b32_e32 v5, 0x20000
	v_lshlrev_b32_e32 v90, 5, v15
	s_waitcnt vmcnt(3)
	v_readfirstlane_b32 s2, v13
	s_nop 1
	v_add3_u32 v8, v8, v55, s2
	v_mad_u64_u32 v[16:17], s[0:1], v8, v15, v[10:11]
	v_mul_u32_u24_e32 v11, 0x110, v13
	v_add_lshl_u32 v9, s2, v9, 3
	s_movk_i32 s2, 0x110
	scratch_store_dword off, v11, s32 offset:1368 ; 4-byte Folded Spill
	v_mov_b32_e32 v11, 0x2400
	v_mad_u32_u24 v11, v13, s2, v11
	scratch_store_dword off, v11, s32 offset:1296 ; 4-byte Folded Spill
	v_mov_b32_e32 v20, v16
	v_readfirstlane_b32 s0, v11
	;;#ASMSTART
	s_mov_b32 m0, s0
	;;#ASMEND
	scratch_store_dwordx2 off, v[20:21], s32 offset:1084 ; 8-byte Folded Spill
	v_lshlrev_b32_e32 v11, 1, v16
	;;#ASMSTART
	buffer_load_dword v11, v[2:5], 0 offen offset:0 lds
	;;#ASMEND
	;;#ASMSTART
	s_add_u32 m0, 0x440, m0
	;;#ASMEND
	v_add_u32_e32 v11, v11, v90
	;;#ASMSTART
	buffer_load_dword v11, v[2:5], 0 offen offset:0 lds
	;;#ASMEND
	;;#ASMSTART
	s_add_u32 m0, 0x440, m0
	;;#ASMEND
	v_add_u32_e32 v11, v11, v90
	;; [unrolled: 7-line block ×7, first 2 shown]
	;;#ASMSTART
	buffer_load_dword v11, v[2:5], 0 offen offset:0 lds
	;;#ASMEND
	v_and_b32_e32 v8, 3, v0
	v_lshlrev_b32_e32 v10, 1, v8
	; sched_barrier mask(0x00000000)
	;;#ASMSTART
	s_waitcnt vmcnt(8)
	;;#ASMEND
	scratch_load_dwordx4 v[34:37], off, s32 offset:1304 ; 16-byte Folded Reload
	scratch_load_dwordx4 v[30:33], off, s32 offset:1320 ; 16-byte Folded Reload
	;; [unrolled: 1-line block ×4, first 2 shown]
	v_and_b32_e32 v20, 24, v7
	v_min_i32_e32 v1, v1, v67
	v_mov_b32_e32 v11, 0x4800
	v_mad_u32_u24 v11, v13, s2, v11
	v_bfe_i32 v13, v0, 4, 1
	v_mul_u32_u24_e32 v8, 0x88, v8
	v_lshlrev_b32_e32 v15, 1, v20
	v_and_b32_e32 v13, 0x440, v13
	v_lshl_add_u32 v8, v8, 1, v15
	s_ashr_i32 s0, s18, 31
	s_lshr_b32 s0, s0, 27
	s_add_i32 s44, s18, 0x80
	s_add_i32 s18, s18, s0
	s_movk_i32 s0, 0x900
	v_mov_b32_e32 v47, v5
	s_ashr_i32 s45, s18, 5
	v_mov_b32_e32 v27, v5
	s_movk_i32 s46, 0x480
	s_add_i32 s47, s13, 0xb54cda56
	s_add_u32 s48, s13, 0x9e3779b9
	s_add_u32 s49, s15, 0xbb67ae85
	s_add_u32 s50, s13, 0x3c6ef372
	s_add_u32 s51, s15, 0x76cf5d0a
	s_add_u32 s52, s13, 0xdaa66d2b
	s_add_u32 s53, s15, 0x32370b8f
	s_add_u32 s54, s13, 0x78dde6e4
	s_add_u32 s55, s15, 0xed9eba14
	s_add_u32 s56, s13, 0x1715609d
	s_add_u32 s57, s15, 0xa9066899
	s_add_i32 s58, s15, 0x646e171e
	s_mov_b64 s[40:41], 0
	s_mov_b32 s59, 0x1000504
	s_mov_b32 s60, 0x3020706
	;; [unrolled: 1-line block ×4, first 2 shown]
	s_movk_i32 s63, 0xff
	s_waitcnt vmcnt(0)
	;;#ASMSTART
	 
	;;#ASMEND
	scratch_load_dwordx2 v[16:17], off, s32 offset:1540 ; 8-byte Folded Reload
	s_waitcnt vmcnt(0)
	v_add_lshl_u32 v46, v12, v16, 1
	scratch_store_dword off, v1, s32 offset:1376 ; 4-byte Folded Spill
	v_or_b32_e32 v1, 1, v20
	scratch_store_dword off, v1, s32 offset:1464 ; 4-byte Folded Spill
	v_or_b32_e32 v1, 2, v20
	scratch_store_dword off, v11, s32 offset:1372 ; 4-byte Folded Spill
	v_lshrrev_b32_e32 v11, 1, v0
	scratch_store_dword off, v1, s32 offset:1468 ; 4-byte Folded Spill
	v_or_b32_e32 v1, 3, v20
	v_and_b32_e32 v11, 4, v11
	scratch_store_dword off, v1, s32 offset:1472 ; 4-byte Folded Spill
	v_or_b32_e32 v1, 4, v20
	v_and_or_b32 v11, v6, 8, v11
	scratch_store_dword off, v1, s32 offset:1476 ; 4-byte Folded Spill
	v_or_b32_e32 v1, 5, v20
	v_lshlrev_b32_e32 v11, 4, v11
	scratch_store_dword off, v1, s32 offset:1480 ; 4-byte Folded Spill
	v_or_b32_e32 v1, 6, v20
	v_add3_u32 v91, v8, v13, v11
	scratch_store_dword off, v1, s32 offset:1484 ; 4-byte Folded Spill
	v_or_b32_e32 v1, 7, v7
	v_lshlrev_b32_e32 v8, 2, v0
	scratch_store_dword off, v1, s32 offset:1488 ; 4-byte Folded Spill
	v_add_u32_e32 v1, 0x80, v8
	v_mov_b32_e32 v11, v67
	scratch_store_dword off, v1, s32 offset:1100 ; 4-byte Folded Spill
	v_bfe_u32 v1, v0, 2, 4
	scratch_store_dwordx2 off, v[10:11], s32 offset:1504 ; 8-byte Folded Spill
	v_and_b32_e32 v11, 6, v6
	v_mul_u32_u24_e32 v1, 0x48, v1
	v_add_u32_e32 v7, 16, v7
	scratch_store_dword off, v11, s32 offset:1380 ; 4-byte Folded Spill
	scratch_store_dword off, v1, s32 offset:1384 ; 4-byte Folded Spill
	v_or_b32_e32 v1, v1, v11
	v_lshrrev_b32_e32 v7, 3, v7
	scratch_store_dword off, v1, s32 offset:1104 ; 4-byte Folded Spill
	v_mul_u32_u24_e32 v1, 0x408, v14
	v_lshlrev_b32_e32 v16, 3, v38
	v_sub_u32_e32 v7, v7, v14
	v_mul_u32_u24_e32 v14, 0x480, v14
	scratch_store_dword off, v16, s32 offset:1400 ; 4-byte Folded Spill
	v_and_or_b32 v14, v16, 56, v14
	v_lshrrev_b32_e32 v16, 3, v0
	v_lshrrev_b32_e32 v11, 3, v38
	scratch_store_dword off, v16, s32 offset:1568 ; 4-byte Folded Spill
	v_or_b32_e32 v16, 12, v16
	v_mul_u32_u24_e32 v12, 0x408, v11
	v_mul_u32_u24_e32 v15, 0x48, v11
	v_sub_u32_e32 v11, v16, v11
	v_mul_i32_i24_e32 v17, 0x408, v7
	v_mul_u32_u24_e32 v11, 0x48, v11
	v_add_lshl_u32 v24, v14, v15, 1
	v_mul_i32_i24_e32 v16, 0x4f8, v7
	v_lshlrev_b32_e32 v15, 1, v15
	v_lshlrev_b32_e32 v11, 1, v11
	v_add3_u32 v16, v17, v16, v24
	v_lshl_add_u32 v14, v14, 1, v15
	v_and_b32_e32 v13, 7, v0
	v_add_u32_e32 v25, v24, v11
	scratch_store_dword off, v16, s32 offset:1108 ; 4-byte Folded Spill
	v_mad_i32_i24 v16, v7, s0, v24
	v_add_u32_e32 v11, v14, v11
	scratch_store_dword off, v1, s32 offset:1392 ; 4-byte Folded Spill
	scratch_store_dword off, v13, s32 offset:1388 ; 4-byte Folded Spill
	;; [unrolled: 1-line block ×6, first 2 shown]
	v_mad_i32_i24 v16, v7, s0, v25
	v_add_u32_e32 v15, 0x2400, v14
	scratch_store_dword off, v11, s32 offset:1124 ; 4-byte Folded Spill
	v_mad_i32_i24 v11, v7, s0, v14
	scratch_store_dword off, v16, s32 offset:1404 ; 4-byte Folded Spill
	scratch_store_dword off, v11, s32 offset:1128 ; 4-byte Folded Spill
	;; [unrolled: 1-line block ×3, first 2 shown]
	v_mad_i32_i24 v11, v7, s0, v15
	v_mov_b32_e32 v1, v28
	scratch_store_dword off, v11, s32 offset:1412 ; 4-byte Folded Spill
	v_add_u32_e32 v11, 0x4800, v14
	v_mad_i32_i24 v7, v7, s0, v11
	v_lshl_add_u64 v[0:1], s[8:9], 0, v[0:1]
	v_and_b32_e32 v6, 0xc0, v6
	scratch_store_dword off, v11, s32 offset:1416 ; 4-byte Folded Spill
	scratch_store_dword off, v7, s32 offset:1420 ; 4-byte Folded Spill
	scratch_store_dword off, v21, s32 offset:1424 ; 4-byte Folded Spill
	scratch_store_dwordx2 off, v[0:1], s32 offset:1444 ; 8-byte Folded Spill
	v_and_b32_e32 v0, 1, v18
	s_movk_i32 s0, 0x6c00
	v_or_b32_e32 v13, v6, v13
	v_cmp_eq_u32_e32 vcc, 1, v0
	v_add3_u32 v0, v6, v12, s0
	scratch_store_dword off, v0, s32 offset:1428 ; 4-byte Folded Spill
	v_add3_u32 v0, v13, v12, s0
	v_max_i32_e32 v7, 1, v21
	scratch_store_dword off, v0, s32 offset:1076 ; 4-byte Folded Spill
	scratch_store_dword off, v20, s32 offset:1492 ; 4-byte Folded Spill
	v_add_u32_e32 v0, v55, v20
	scratch_store_dword off, v0, s32 offset:1132 ; 4-byte Folded Spill
	v_lshlrev_b32_e32 v0, 7, v7
	scratch_store_dword off, v0, s32 offset:1432 ; 4-byte Folded Spill
	v_and_b32_e32 v0, 0xf0, v8
	v_accvgpr_write_b32 a112, v0
	v_add3_u32 v0, v55, v9, v10
	v_add_u32_e32 v1, 0x60, v0
	v_mul_lo_u32 v1, v19, v1
	v_lshlrev_b32_e32 v1, 1, v1
	v_accvgpr_write_b32 a113, v1
	v_lshlrev_b32_e32 v1, 8, v19
	scratch_store_dword off, v1, s32 offset:1436 ; 4-byte Folded Spill
	v_add_u32_e32 v1, 0x61, v0
	v_mul_lo_u32 v1, v19, v1
	v_lshlrev_b32_e32 v1, 1, v1
	v_accvgpr_write_b32 a115, v1
	v_add_u32_e32 v1, 0x41, v0
	v_mul_lo_u32 v1, v19, v1
	v_lshlrev_b32_e32 v1, 1, v1
	v_accvgpr_write_b32 a116, v1
	;; [unrolled: 4-line block ×4, first 2 shown]
	v_add_u32_e32 v1, 32, v0
	v_mul_lo_u32 v1, v19, v1
	v_lshlrev_b32_e32 v1, 1, v1
	v_mul_lo_u32 v0, v19, v0
	v_accvgpr_write_b32 a79, v1
	v_add_lshl_u32 v1, v0, v19, 1
	v_accvgpr_write_b32 a105, v1
	v_lshlrev_b32_e32 v30, 1, v0
	scratch_store_dword off, v55, s32 offset:1440 ; 4-byte Folded Spill
	scratch_store_dword off, v55, s32 offset:1136 ; 4-byte Folded Spill
	s_branch .LBB1_45
.LBB1_44:                               ;   in Loop: Header=BB1_45 Depth=1
	s_or_b64 exec, exec, s[2:3]
	s_waitcnt lgkmcnt(0)
	s_barrier
	scratch_load_dword v21, off, s32 offset:1112 ; 4-byte Folded Reload
	v_lshrrev_b32_e32 v8, 8, v28
	v_and_b32_e32 v9, 0xff, v28
	v_accvgpr_read_b32 v10, a69
	v_and_b32_e32 v8, 0xff, v8
	v_mul_f32_e32 v10, v92, v10
	v_cmp_ge_u16_sdwa s[0:1], v126, v9 src0_sel:BYTE_0 src1_sel:DWORD
	v_accvgpr_read_b32 v9, a120
	v_and_b32_sdwa v7, v28, s63 dst_sel:DWORD dst_unused:UNUSED_PAD src0_sel:WORD_1 src1_sel:DWORD
	v_cndmask_b32_e64 v10, 0, v10, s[0:1]
	v_mul_f32_e32 v9, v92, v9
	v_cmp_ge_u16_sdwa s[0:1], v126, v8 src0_sel:BYTE_0 src1_sel:DWORD
	v_accvgpr_read_b32 v8, a121
	v_lshrrev_b32_e32 v6, 24, v28
	v_cndmask_b32_e64 v11, 0, v9, s[0:1]
	v_mul_f32_e32 v8, v92, v8
	v_cmp_ge_u16_sdwa s[0:1], v126, v7 src0_sel:BYTE_0 src1_sel:DWORD
	v_accvgpr_read_b32 v7, a100
	v_lshrrev_b32_e32 v0, 8, v29
	v_and_b32_e32 v1, 0xff, v29
	v_cndmask_b32_e64 v12, 0, v8, s[0:1]
	v_mul_f32_e32 v7, v92, v7
	v_cmp_ge_u16_sdwa s[0:1], v126, v6 src0_sel:BYTE_0 src1_sel:DWORD
	v_accvgpr_read_b32 v6, a101
	v_and_b32_e32 v0, 0xff, v0
	v_cndmask_b32_e64 v13, 0, v7, s[0:1]
	v_mul_f32_e32 v16, v92, v6
	v_cmp_ge_u16_sdwa s[0:1], v126, v1 src0_sel:BYTE_0 src1_sel:DWORD
	v_accvgpr_read_b32 v1, a98
	v_mul_f32_e32 v1, v92, v1
	v_cndmask_b32_e64 v16, 0, v16, s[0:1]
	v_cmp_ge_u16_sdwa s[0:1], v126, v0 src0_sel:BYTE_0 src1_sel:DWORD
	v_accvgpr_read_b32 v0, a99
	v_mul_f32_e32 v20, v92, v0
	v_cndmask_b32_e64 v17, 0, v1, s[0:1]
	v_cvt_pkrtz_f16_f32 v0, v10, v11
	v_cvt_pkrtz_f16_f32 v1, v12, v13
	v_and_b32_sdwa v15, v29, s63 dst_sel:DWORD dst_unused:UNUSED_PAD src0_sel:WORD_1 src1_sel:DWORD
	v_lshrrev_b32_e32 v14, 24, v29
	v_cmp_ge_u16_sdwa s[0:1], v126, v15 src0_sel:BYTE_0 src1_sel:DWORD
	v_accvgpr_read_b32 v24, a97
	v_mul_f32_e32 v24, v92, v24
	s_addk_i32 s38, 0x80
	s_add_i32 s43, s43, 1
	ds_read_b128 v[36:39], v45
	s_waitcnt vmcnt(0)
	ds_read_b128 v[6:9], v21
	ds_read_b128 v[10:13], v21 offset:576
	s_waitcnt lgkmcnt(0)
	v_mfma_f32_32x32x8_f16 a[16:31], v[10:11], v[0:1], a[16:31]
	v_lshrrev_b32_e32 v10, 8, v19
	v_mfma_f32_32x32x8_f16 a[0:15], v[6:7], v[0:1], a[0:15]
	v_cndmask_b32_e64 v6, 0, v20, s[0:1]
	v_cmp_ge_u16_sdwa s[0:1], v126, v14 src0_sel:BYTE_0 src1_sel:DWORD
	v_cvt_pkrtz_f16_f32 v14, v16, v17
	v_and_b32_e32 v16, 0xff, v10
	scratch_load_dword v10, off, s32 offset:1120 ; 4-byte Folded Reload
	v_accvgpr_read_b32 v7, a102
	v_mul_f32_e32 v7, v92, v7
	v_cndmask_b32_e64 v7, 0, v7, s[0:1]
	v_cvt_pkrtz_f16_f32 v15, v6, v7
	v_lshrrev_b32_e32 v20, 24, v19
	v_and_b32_sdwa v17, v18, s63 dst_sel:DWORD dst_unused:UNUSED_PAD src0_sel:WORD_1 src1_sel:DWORD
	v_mfma_f32_32x32x8_f16 a[0:15], v[8:9], v[14:15], a[0:15]
	ds_read_b128 v[6:9], v21 offset:1152
	v_mfma_f32_32x32x8_f16 a[16:31], v[12:13], v[14:15], a[16:31]
	s_waitcnt vmcnt(0)
	ds_read_b128 v[10:13], v10
	s_waitcnt lgkmcnt(1)
	v_mfma_f32_32x32x8_f16 a[32:47], v[6:7], v[0:1], a[32:47]
	v_and_b32_sdwa v21, v19, s63 dst_sel:DWORD dst_unused:UNUSED_PAD src0_sel:WORD_1 src1_sel:DWORD
	v_and_b32_e32 v6, 0xff, v19
	v_lshrrev_b32_e32 v7, 24, v18
	v_lshrrev_b32_e32 v19, 8, v18
	v_and_b32_e32 v18, 0xff, v18
	v_and_b32_e32 v19, 0xff, v19
	v_cmp_ge_u16_sdwa s[0:1], v126, v18 src0_sel:BYTE_0 src1_sel:DWORD
	v_mfma_f32_32x32x8_f16 a[32:47], v[8:9], v[14:15], a[32:47]
	v_accvgpr_read_b32 v8, a124
	v_cndmask_b32_e64 v18, 0, v24, s[0:1]
	v_mul_f32_e32 v8, v92, v8
	v_cmp_ge_u16_sdwa s[0:1], v126, v19 src0_sel:BYTE_0 src1_sel:DWORD
	scratch_load_dword v24, off, s32 offset:1116 ; 4-byte Folded Reload
	s_waitcnt vmcnt(0)
	ds_read_b128 v[32:35], v24 offset:1152
	v_cndmask_b32_e64 v19, 0, v8, s[0:1]
	v_accvgpr_read_b32 v8, a125
	v_mul_f32_e32 v8, v92, v8
	v_cmp_ge_u16_sdwa s[0:1], v126, v17 src0_sel:BYTE_0 src1_sel:DWORD
	s_waitcnt lgkmcnt(1)
	v_mfma_f32_32x32x8_f16 a[48:63], v[10:11], v[0:1], a[48:63]
	v_accvgpr_read_b32 v0, a70
	v_cndmask_b32_e64 v17, 0, v8, s[0:1]
	v_mul_f32_e32 v0, v92, v0
	v_cmp_ge_u16_sdwa s[0:1], v126, v7 src0_sel:BYTE_0 src1_sel:DWORD
	v_accvgpr_read_b32 v1, a108
	v_mul_f32_e32 v1, v92, v1
	v_cndmask_b32_e64 v0, 0, v0, s[0:1]
	v_cmp_ge_u16_sdwa s[0:1], v126, v6 src0_sel:BYTE_0 src1_sel:DWORD
	scratch_load_dword v6, off, s32 offset:1108 ; 4-byte Folded Reload
	v_cvt_pkrtz_f16_f32 v30, v18, v19
	v_cndmask_b32_e64 v1, 0, v1, s[0:1]
	v_cmp_ge_u16_sdwa s[0:1], v126, v16 src0_sel:BYTE_0 src1_sel:DWORD
	v_cvt_pkrtz_f16_f32 v31, v17, v0
	ds_read_b128 v[16:19], v24 offset:576
	v_mfma_f32_32x32x8_f16 a[48:63], v[12:13], v[14:15], a[48:63]
	v_accvgpr_read_b32 v10, a78
	v_mul_f32_e32 v10, v92, v10
	v_accvgpr_read_b32 v11, a114
	v_cndmask_b32_e64 v10, 0, v10, s[0:1]
	v_mul_f32_e32 v11, v92, v11
	v_cmp_ge_u16_sdwa s[0:1], v126, v21 src0_sel:BYTE_0 src1_sel:DWORD
	v_cvt_pkrtz_f16_f32 v50, v1, v10
	s_waitcnt lgkmcnt(0)
	v_mfma_f32_32x32x8_f16 a[16:31], v[16:17], v[30:31], a[16:31]
	v_cndmask_b32_e64 v0, 0, v11, s[0:1]
	v_cmp_ge_u16_sdwa s[0:1], v126, v20 src0_sel:BYTE_0 src1_sel:DWORD
	v_accvgpr_read_b32 v1, a103
	s_waitcnt vmcnt(0)
	ds_read_b128 v[6:9], v6
	s_waitcnt lgkmcnt(0)
	v_mfma_f32_32x32x8_f16 a[0:15], v[6:7], v[30:31], a[0:15]
	v_accvgpr_read_b32 v6, a96
	v_mul_f32_e32 v6, v92, v6
	v_cndmask_b32_e64 v6, 0, v6, s[0:1]
	v_cvt_pkrtz_f16_f32 v51, v0, v6
	v_accvgpr_read_b32 v0, a88
	v_add_f32_e32 v48, v0, v1
	scratch_load_dword v0, off, s32 offset:1196 ; 4-byte Folded Reload
	v_mfma_f32_32x32x8_f16 a[32:47], v[32:33], v[30:31], a[32:47]
	v_mfma_f32_32x32x8_f16 a[48:63], v[36:37], v[30:31], a[48:63]
	scratch_load_dword v31, off, s32 offset:1436 ; 4-byte Folded Reload
	v_accvgpr_read_b32 v30, a113
	s_waitcnt vmcnt(0)
	v_add_u32_e32 v30, v30, v31
	v_accvgpr_write_b32 a113, v30
	v_accvgpr_read_b32 v30, a115
	v_add_u32_e32 v30, v30, v31
	v_accvgpr_write_b32 a115, v30
	v_accvgpr_read_b32 v30, a116
	;; [unrolled: 3-line block ×6, first 2 shown]
	v_add_u32_e32 v30, v30, v31
	v_accvgpr_write_b32 a105, v30
	scratch_load_dword v30, off, s32 offset:1432 ; 4-byte Folded Reload
	v_mfma_f32_32x32x8_f16 a[0:15], v[8:9], v[50:51], a[0:15]
	s_waitcnt vmcnt(0)
	v_cmp_eq_u32_e64 s[0:1], s38, v30
	scratch_load_dword v30, off, s32 offset:1200 ; 4-byte Folded Reload
	v_mfma_f32_32x32x8_f16 a[16:31], v[18:19], v[50:51], a[16:31]
	v_fmac_f32_e32 v48, v0, v118
	s_nop 5
	v_accvgpr_read_b32 v1, a15
	v_accvgpr_read_b32 v0, a14
	;; [unrolled: 1-line block ×6, first 2 shown]
	v_mfma_f32_32x32x8_f16 a[32:47], v[34:35], v[50:51], a[32:47]
	v_accvgpr_read_b32 v13, a9
	v_accvgpr_read_b32 v12, a8
	;; [unrolled: 1-line block ×7, first 2 shown]
	v_mfma_f32_32x32x8_f16 a[48:63], v[38:39], v[50:51], a[48:63]
	v_accvgpr_read_b32 v10, a30
	v_accvgpr_read_b32 v19, a29
	;; [unrolled: 1-line block ×47, first 2 shown]
	s_or_b64 s[40:41], s[0:1], s[40:41]
	s_waitcnt vmcnt(0)
	v_add_u32_e32 v30, v30, v31
	s_andn2_b64 exec, exec, s[40:41]
	s_cbranch_execz .LBB1_89
.LBB1_45:                               ; =>This Loop Header: Depth=1
                                        ;     Child Loop BB1_46 Depth 2
                                        ;     Child Loop BB1_48 Depth 2
                                        ;     Child Loop BB1_52 Depth 2
                                        ;     Child Loop BB1_54 Depth 2
                                        ;     Child Loop BB1_57 Depth 2
                                        ;     Child Loop BB1_59 Depth 2
                                        ;     Child Loop BB1_63 Depth 2
                                        ;     Child Loop BB1_65 Depth 2
                                        ;     Child Loop BB1_69 Depth 2
                                        ;     Child Loop BB1_71 Depth 2
                                        ;     Child Loop BB1_75 Depth 2
                                        ;     Child Loop BB1_77 Depth 2
                                        ;     Child Loop BB1_80 Depth 2
                                        ;     Child Loop BB1_82 Depth 2
                                        ;     Child Loop BB1_84 Depth 2
                                        ;     Child Loop BB1_86 Depth 2
	v_accvgpr_read_b32 v1, a15
	v_accvgpr_read_b32 v0, a14
	scratch_store_dwordx2 off, v[0:1], s32 offset:1188 ; 8-byte Folded Spill
	v_accvgpr_read_b32 v1, a13
	v_accvgpr_read_b32 v0, a12
	scratch_store_dwordx2 off, v[0:1], s32 offset:1180 ; 8-byte Folded Spill
	;; [unrolled: 3-line block ×18, first 2 shown]
	scratch_load_dword v0, off, s32 offset:1372 ; 4-byte Folded Reload
	v_accvgpr_write_b32 a104, v52
	scratch_store_dword off, v48, s32 offset:1196 ; 4-byte Folded Spill
	v_accvgpr_mov_b32 a123, a9
	v_accvgpr_mov_b32 a122, a8
	;; [unrolled: 1-line block ×28, first 2 shown]
	s_waitcnt vmcnt(1)
	v_readfirstlane_b32 s0, v0
	;;#ASMSTART
	s_mov_b32 m0, s0
	;;#ASMEND
	scratch_load_dwordx2 v[18:19], off, s32 offset:1084 ; 8-byte Folded Reload
	s_waitcnt vmcnt(0)
	v_lshlrev_b32_e32 v0, 1, v18
	v_add_u32_e32 v1, 64, v0
	;;#ASMSTART
	buffer_load_dword v1, v[2:5], 0 offen offset:0 lds
	;;#ASMEND
	;;#ASMSTART
	s_add_u32 m0, 0x440, m0
	;;#ASMEND
	v_add_u32_e32 v1, v1, v90
	;;#ASMSTART
	buffer_load_dword v1, v[2:5], 0 offen offset:0 lds
	;;#ASMEND
	;;#ASMSTART
	s_add_u32 m0, 0x440, m0
	;;#ASMEND
	;; [unrolled: 7-line block ×7, first 2 shown]
	v_add_u32_e32 v1, v1, v90
	;;#ASMSTART
	buffer_load_dword v1, v[2:5], 0 offen offset:0 lds
	;;#ASMEND
	;;#ASMSTART
	s_waitcnt vmcnt(8)
	;;#ASMEND
	s_barrier
	; sched_barrier mask(0x00000000)
	ds_read_b128 v[6:9], v91 offset:9216
	ds_read_b128 v[10:13], v91 offset:9248
	scratch_load_dwordx4 v[14:17], off, s32 offset:1304 ; 16-byte Folded Reload
	scratch_load_dword v1, off, s32 offset:1368 ; 4-byte Folded Reload
	v_add_u32_e32 v0, 0x80, v0
	v_add_u32_e32 v18, 0x60, v18
	s_waitcnt vmcnt(1) lgkmcnt(1)
	v_mfma_f32_32x32x8_f16 a[48:63], v[6:7], v[14:15], 0
	s_waitcnt vmcnt(0)
	v_readfirstlane_b32 s0, v1
	v_mfma_f32_32x32x8_f16 a[48:63], v[8:9], v[16:17], a[48:63]
	ds_read_b128 v[6:9], v91 offset:11392
	s_waitcnt lgkmcnt(0)
	v_mfma_f32_32x32x8_f16 a[32:47], v[6:7], v[14:15], 0
	v_mfma_f32_32x32x8_f16 a[32:47], v[8:9], v[16:17], a[32:47]
	ds_read_b128 v[6:9], v91 offset:13568
	s_waitcnt lgkmcnt(0)
	v_mfma_f32_32x32x8_f16 a[16:31], v[6:7], v[14:15], 0
	;; [unrolled: 4-line block ×3, first 2 shown]
	v_mfma_f32_32x32x8_f16 a[0:15], v[8:9], v[16:17], a[0:15]
	scratch_load_dwordx4 v[14:17], off, s32 offset:1320 ; 16-byte Folded Reload
	ds_read_b128 v[6:9], v91 offset:11424
	s_waitcnt vmcnt(0) lgkmcnt(0)
	v_mfma_f32_32x32x8_f16 a[32:47], v[6:7], v[14:15], a[32:47]
	v_mfma_f32_32x32x8_f16 a[32:47], v[8:9], v[16:17], a[32:47]
	ds_read_b128 v[6:9], v91 offset:13600
	s_waitcnt lgkmcnt(0)
	v_mfma_f32_32x32x8_f16 a[16:31], v[6:7], v[14:15], a[16:31]
	v_mfma_f32_32x32x8_f16 a[16:31], v[8:9], v[16:17], a[16:31]
	ds_read_b128 v[6:9], v91 offset:15776
	;;#ASMSTART
	s_mov_b32 m0, s0
	;;#ASMEND
	;;#ASMSTART
	buffer_load_dword v0, v[2:5], 0 offen offset:0 lds
	;;#ASMEND
	;;#ASMSTART
	s_add_u32 m0, 0x440, m0
	;;#ASMEND
	v_add_u32_e32 v0, v0, v90
	;;#ASMSTART
	buffer_load_dword v0, v[2:5], 0 offen offset:0 lds
	;;#ASMEND
	;;#ASMSTART
	s_add_u32 m0, 0x440, m0
	;;#ASMEND
	v_mfma_f32_32x32x8_f16 a[48:63], v[10:11], v[14:15], a[48:63]
	v_add_u32_e32 v0, v0, v90
	;;#ASMSTART
	buffer_load_dword v0, v[2:5], 0 offen offset:0 lds
	;;#ASMEND
	;;#ASMSTART
	s_add_u32 m0, 0x440, m0
	;;#ASMEND
	v_add_u32_e32 v0, v0, v90
	;;#ASMSTART
	buffer_load_dword v0, v[2:5], 0 offen offset:0 lds
	;;#ASMEND
	;;#ASMSTART
	s_add_u32 m0, 0x440, m0
	;;#ASMEND
	v_add_u32_e32 v0, v0, v90
	s_waitcnt lgkmcnt(0)
	v_mfma_f32_32x32x8_f16 a[0:15], v[6:7], v[14:15], a[0:15]
	;;#ASMSTART
	buffer_load_dword v0, v[2:5], 0 offen offset:0 lds
	;;#ASMEND
	;;#ASMSTART
	s_add_u32 m0, 0x440, m0
	;;#ASMEND
	v_add_u32_e32 v0, v0, v90
	;;#ASMSTART
	buffer_load_dword v0, v[2:5], 0 offen offset:0 lds
	;;#ASMEND
	;;#ASMSTART
	s_add_u32 m0, 0x440, m0
	;;#ASMEND
	v_add_u32_e32 v0, v0, v90
	;;#ASMSTART
	buffer_load_dword v0, v[2:5], 0 offen offset:0 lds
	;;#ASMEND
	v_mfma_f32_32x32x8_f16 a[48:63], v[12:13], v[16:17], a[48:63]
	;;#ASMSTART
	s_add_u32 m0, 0x440, m0
	;;#ASMEND
	v_add_u32_e32 v0, v0, v90
	;;#ASMSTART
	buffer_load_dword v0, v[2:5], 0 offen offset:0 lds
	;;#ASMEND
	;;#ASMSTART
	s_waitcnt vmcnt(8)
	;;#ASMEND
	s_barrier
	v_mfma_f32_32x32x8_f16 a[0:15], v[8:9], v[16:17], a[0:15]
	; sched_barrier mask(0x00000000)
	ds_read_b128 v[6:9], v91 offset:18432
	ds_read_b128 v[10:13], v91 offset:18464
	scratch_load_dwordx4 v[14:17], off, s32 offset:1352 ; 16-byte Folded Reload
	s_waitcnt vmcnt(0) lgkmcnt(1)
	v_mfma_f32_32x32x8_f16 a[48:63], v[6:7], v[14:15], a[48:63]
	scratch_load_dword v0, off, s32 offset:1296 ; 4-byte Folded Reload
	s_waitcnt vmcnt(0)
	v_readfirstlane_b32 s0, v0
	v_mfma_f32_32x32x8_f16 a[48:63], v[8:9], v[16:17], a[48:63]
	ds_read_b128 v[6:9], v91 offset:20608
	v_mov_b32_e32 v0, v18
	s_waitcnt lgkmcnt(0)
	v_mfma_f32_32x32x8_f16 a[32:47], v[6:7], v[14:15], a[32:47]
	v_mfma_f32_32x32x8_f16 a[32:47], v[8:9], v[16:17], a[32:47]
	ds_read_b128 v[6:9], v91 offset:22784
	s_waitcnt lgkmcnt(0)
	v_mfma_f32_32x32x8_f16 a[16:31], v[6:7], v[14:15], a[16:31]
	v_mfma_f32_32x32x8_f16 a[16:31], v[8:9], v[16:17], a[16:31]
	ds_read_b128 v[6:9], v91 offset:24960
	s_waitcnt lgkmcnt(0)
	v_mfma_f32_32x32x8_f16 a[0:15], v[6:7], v[14:15], a[0:15]
	v_mfma_f32_32x32x8_f16 a[0:15], v[8:9], v[16:17], a[0:15]
	scratch_load_dwordx4 v[14:17], off, s32 offset:1336 ; 16-byte Folded Reload
	ds_read_b128 v[6:9], v91 offset:20640
	s_waitcnt vmcnt(0) lgkmcnt(0)
	v_mfma_f32_32x32x8_f16 a[32:47], v[6:7], v[14:15], a[32:47]
	v_mfma_f32_32x32x8_f16 a[32:47], v[8:9], v[16:17], a[32:47]
	ds_read_b128 v[6:9], v91 offset:22816
	s_waitcnt lgkmcnt(0)
	v_mfma_f32_32x32x8_f16 a[16:31], v[6:7], v[14:15], a[16:31]
	v_mfma_f32_32x32x8_f16 a[16:31], v[8:9], v[16:17], a[16:31]
	ds_read_b128 v[6:9], v91 offset:24992
	;;#ASMSTART
	s_mov_b32 m0, s0
	;;#ASMEND
	scratch_store_dwordx2 off, v[0:1], s32 offset:1084 ; 8-byte Folded Spill
	v_lshlrev_b32_e32 v0, 1, v18
	;;#ASMSTART
	buffer_load_dword v0, v[2:5], 0 offen offset:0 lds
	;;#ASMEND
	;;#ASMSTART
	s_add_u32 m0, 0x440, m0
	;;#ASMEND
	v_add_u32_e32 v0, v0, v90
	v_mfma_f32_32x32x8_f16 a[48:63], v[10:11], v[14:15], a[48:63]
	;;#ASMSTART
	buffer_load_dword v0, v[2:5], 0 offen offset:0 lds
	;;#ASMEND
	;;#ASMSTART
	s_add_u32 m0, 0x440, m0
	;;#ASMEND
	v_add_u32_e32 v0, v0, v90
	;;#ASMSTART
	buffer_load_dword v0, v[2:5], 0 offen offset:0 lds
	;;#ASMEND
	;;#ASMSTART
	s_add_u32 m0, 0x440, m0
	;;#ASMEND
	v_add_u32_e32 v0, v0, v90
	;;#ASMSTART
	buffer_load_dword v0, v[2:5], 0 offen offset:0 lds
	;;#ASMEND
	s_waitcnt lgkmcnt(0)
	v_mfma_f32_32x32x8_f16 a[0:15], v[6:7], v[14:15], a[0:15]
	;;#ASMSTART
	s_add_u32 m0, 0x440, m0
	;;#ASMEND
	v_add_u32_e32 v0, v0, v90
	;;#ASMSTART
	buffer_load_dword v0, v[2:5], 0 offen offset:0 lds
	;;#ASMEND
	;;#ASMSTART
	s_add_u32 m0, 0x440, m0
	;;#ASMEND
	v_add_u32_e32 v0, v0, v90
	;;#ASMSTART
	buffer_load_dword v0, v[2:5], 0 offen offset:0 lds
	;;#ASMEND
	;;#ASMSTART
	s_add_u32 m0, 0x440, m0
	;;#ASMEND
	v_mfma_f32_32x32x8_f16 a[48:63], v[12:13], v[16:17], a[48:63]
	v_add_u32_e32 v0, v0, v90
	;;#ASMSTART
	buffer_load_dword v0, v[2:5], 0 offen offset:0 lds
	;;#ASMEND
	;;#ASMSTART
	s_add_u32 m0, 0x440, m0
	;;#ASMEND
	v_add_u32_e32 v0, v0, v90
	;;#ASMSTART
	buffer_load_dword v0, v[2:5], 0 offen offset:0 lds
	;;#ASMEND
	;;#ASMSTART
	s_waitcnt vmcnt(8)
	;;#ASMEND
	s_barrier
	v_mfma_f32_32x32x8_f16 a[0:15], v[8:9], v[16:17], a[0:15]
	; sched_barrier mask(0x00000000)
	ds_read_b128 v[6:9], v91
	v_accvgpr_read_b32 v0, a112
	v_add_u32_e32 v0, v0, v30
	s_mov_b64 s[8:9], exec
	s_waitcnt lgkmcnt(0)
	v_mfma_f32_32x32x8_f16 a[48:63], v[6:7], v[84:85], a[48:63]
	v_mfma_f32_32x32x8_f16 a[48:63], v[8:9], v[86:87], a[48:63]
	ds_read_b128 v[6:9], v91 offset:2176
	s_waitcnt lgkmcnt(0)
	v_mfma_f32_32x32x8_f16 a[32:47], v[6:7], v[84:85], a[32:47]
	v_mfma_f32_32x32x8_f16 a[32:47], v[8:9], v[86:87], a[32:47]
	ds_read_b128 v[6:9], v91 offset:4352
	;; [unrolled: 4-line block ×7, first 2 shown]
	;;#ASMSTART
	s_waitcnt vmcnt(0)
	;;#ASMEND
	s_barrier
	scratch_store_dword off, v30, s32 offset:1200 ; 4-byte Folded Spill
	s_waitcnt lgkmcnt(0)
	v_mfma_f32_32x32x8_f16 a[0:15], v[6:7], v[80:81], a[0:15]
	v_mfma_f32_32x32x8_f16 a[0:15], v[8:9], v[82:83], a[0:15]
.LBB1_46:                               ;   Parent Loop BB1_45 Depth=1
                                        ; =>  This Inner Loop Header: Depth=2
	v_readfirstlane_b32 s4, v22
	v_readfirstlane_b32 s5, v23
	;; [unrolled: 1-line block ×4, first 2 shown]
	v_cmp_eq_u64_e64 s[0:1], s[4:5], v[22:23]
	s_nop 0
	v_cmp_eq_u64_e64 s[2:3], s[6:7], v[46:47]
	s_and_b64 s[0:1], s[0:1], s[2:3]
	s_and_saveexec_b64 s[0:1], s[0:1]
	buffer_load_dwordx4 v[14:17], v0, s[4:7], 0 offen
                                        ; implicit-def: $vgpr0
	s_xor_b64 exec, exec, s[0:1]
	s_cbranch_execnz .LBB1_46
; %bb.47:                               ;   in Loop: Header=BB1_45 Depth=1
	s_mov_b64 exec, s[8:9]
	v_accvgpr_read_b32 v0, a112
	v_accvgpr_read_b32 v1, a105
	v_add_u32_e32 v0, v0, v1
	s_mov_b64 s[8:9], exec
.LBB1_48:                               ;   Parent Loop BB1_45 Depth=1
                                        ; =>  This Inner Loop Header: Depth=2
	v_readfirstlane_b32 s4, v22
	v_readfirstlane_b32 s5, v23
	;; [unrolled: 1-line block ×4, first 2 shown]
	v_cmp_eq_u64_e64 s[0:1], s[4:5], v[22:23]
	s_nop 0
	v_cmp_eq_u64_e64 s[2:3], s[6:7], v[46:47]
	s_and_b64 s[0:1], s[0:1], s[2:3]
	s_and_saveexec_b64 s[0:1], s[0:1]
	buffer_load_dwordx4 v[30:33], v0, s[4:7], 0 offen
                                        ; implicit-def: $vgpr0
	s_xor_b64 exec, exec, s[0:1]
	s_cbranch_execnz .LBB1_48
; %bb.49:                               ;   in Loop: Header=BB1_45 Depth=1
	s_mov_b64 exec, s[8:9]
	; sched_barrier mask(0x00000000)
	ds_read_b128 v[6:9], v91 offset:9216
	ds_read_b128 v[10:13], v91 offset:9248
	s_waitcnt lgkmcnt(1)
	v_mfma_f32_32x32x8_f16 a[48:63], v[6:7], v[96:97], a[48:63]
	v_mfma_f32_32x32x8_f16 a[48:63], v[8:9], v[98:99], a[48:63]
	ds_read_b128 v[6:9], v91 offset:11392
	s_waitcnt lgkmcnt(1)
	v_mfma_f32_32x32x8_f16 a[48:63], v[10:11], v[100:101], a[48:63]
	v_mfma_f32_32x32x8_f16 a[48:63], v[12:13], v[102:103], a[48:63]
	ds_read_b128 v[10:13], v91 offset:13600
	s_waitcnt lgkmcnt(1)
	v_mfma_f32_32x32x8_f16 a[32:47], v[6:7], v[96:97], a[32:47]
	s_nop 7
	v_accvgpr_read_b32 v45, a62
	v_mul_f32_e32 v45, v94, v45
	v_mul_f32_e32 v45, 0x4038aa3b, v45
	v_exp_f32_e32 v45, v45
	v_mfma_f32_32x32x8_f16 a[32:47], v[8:9], v[98:99], a[32:47]
	ds_read_b128 v[6:9], v91 offset:13568
	v_accvgpr_read_b32 v118, a63
	v_add_f32_e32 v45, 1.0, v45
	v_rcp_f32_e32 v45, v45
	v_mul_f32_e32 v118, v94, v118
	v_mul_f32_e32 v118, 0x4038aa3b, v118
	v_exp_f32_e32 v118, v118
	s_waitcnt lgkmcnt(0)
	v_mfma_f32_32x32x8_f16 a[16:31], v[6:7], v[96:97], a[16:31]
	v_fma_f32 v45, v45, -2.0, 1.0
	v_mul_f32_e32 v74, v93, v45
	v_add_f32_e32 v118, 1.0, v118
	v_rcp_f32_e32 v118, v118
	v_accvgpr_read_b32 v58, a61
	v_mul_f32_e32 v58, v94, v58
	v_mul_f32_e32 v58, 0x4038aa3b, v58
	v_mfma_f32_32x32x8_f16 a[16:31], v[8:9], v[98:99], a[16:31]
	ds_read_b128 v[6:9], v91 offset:15744
	v_fma_f32 v118, v118, -2.0, 1.0
	v_mul_f32_e32 v75, v93, v118
	v_exp_f32_e32 v58, v58
	v_accvgpr_read_b32 v18, a48
	v_accvgpr_read_b32 v19, a49
	;; [unrolled: 1-line block ×3, first 2 shown]
	v_mfma_f32_32x32x8_f16 a[16:31], v[10:11], v[100:101], a[16:31]
	v_add_f32_e32 v58, 1.0, v58
	v_rcp_f32_e32 v58, v58
	v_accvgpr_read_b32 v29, a51
	v_accvgpr_read_b32 v53, a52
	;; [unrolled: 1-line block ×3, first 2 shown]
	v_fma_f32 v58, v58, -2.0, 1.0
	v_mul_f32_e32 v73, v93, v58
	s_waitcnt lgkmcnt(0)
	v_mfma_f32_32x32x8_f16 a[0:15], v[6:7], v[96:97], a[0:15]
	v_accvgpr_read_b32 v55, a54
	v_accvgpr_read_b32 v119, a55
	v_accvgpr_read_b32 v60, a56
	v_accvgpr_read_b32 v61, a57
	v_accvgpr_read_b32 v62, a58
	v_accvgpr_read_b32 v63, a59
	v_accvgpr_read_b32 v72, a60
	v_mfma_f32_32x32x8_f16 a[16:31], v[12:13], v[102:103], a[16:31]
	v_mul_f32_e32 v18, v94, v18
	v_mul_f32_e32 v19, v94, v19
	v_mul_f32_e32 v28, v94, v28
	v_mul_f32_e32 v29, v94, v29
	v_mul_f32_e32 v53, v94, v53
	v_mul_f32_e32 v54, v94, v54
	v_mul_f32_e32 v55, v94, v55
	v_mfma_f32_32x32x8_f16 a[0:15], v[8:9], v[98:99], a[0:15]
	ds_read_b128 v[6:9], v91 offset:11424
	v_mul_f32_e32 v119, v94, v119
	v_mul_f32_e32 v60, v94, v60
	v_accvgpr_read_b32 v48, a16
	v_accvgpr_read_b32 v20, a17
	;; [unrolled: 1-line block ×4, first 2 shown]
	ds_read_b128 a[16:19], v91 offset:15776
	s_waitcnt lgkmcnt(0)
	v_mfma_f32_32x32x8_f16 a[0:15], a[16:17], v[100:101], a[0:15]
	v_accvgpr_read_b32 v39, a23
	v_accvgpr_read_b32 v37, a24
	; sched_barrier mask(0x00000001)
	v_accvgpr_read_b32 v36, a25
	v_accvgpr_read_b32 v34, a26
	v_accvgpr_read_b32 v109, a28
	v_accvgpr_read_b32 v108, a29
	v_accvgpr_read_b32 v115, a30
	v_mfma_f32_32x32x8_f16 a[0:15], a[18:19], v[102:103], a[0:15]
	v_accvgpr_read_b32 v114, a31
	v_accvgpr_read_b32 v12, a20
	;; [unrolled: 1-line block ×4, first 2 shown]
	v_mul_f32_e32 v61, v94, v61
	v_mul_f32_e32 v62, v94, v62
	;; [unrolled: 1-line block ×3, first 2 shown]
	v_mfma_f32_32x32x8_f16 a[32:47], v[6:7], v[100:101], a[32:47]
	v_accvgpr_read_b32 v6, a27
	v_mul_f32_e32 v72, v94, v72
	v_mul_f32_e32 v12, v94, v12
	v_accvgpr_read_b32 v7, a7
	v_mul_f32_e32 v7, v94, v7
	v_mul_f32_e32 v7, 0x4038aa3b, v7
	v_exp_f32_e32 v7, v7
	v_mfma_f32_32x32x8_f16 a[32:47], v[8:9], v[102:103], a[32:47]
	v_accvgpr_read_b32 v89, a8
	v_accvgpr_read_b32 v88, a9
	v_add_f32_e32 v7, 1.0, v7
	v_rcp_f32_e32 v7, v7
	v_accvgpr_read_b32 v113, a10
	v_accvgpr_read_b32 v112, a11
	;; [unrolled: 1-line block ×3, first 2 shown]
	v_fma_f32 v7, v7, -2.0, 1.0
	v_mul_f32_e32 v45, v93, v7
	v_mul_f32_e32 v7, v94, v89
	;; [unrolled: 1-line block ×3, first 2 shown]
	v_accvgpr_read_b32 v0, a47
	v_mul_f32_e32 v0, v94, v0
	v_mul_f32_e32 v0, 0x4038aa3b, v0
	v_exp_f32_e32 v0, v0
	v_exp_f32_e32 v7, v7
	v_accvgpr_read_b32 v49, a43
	v_mul_f32_e32 v49, v94, v49
	v_add_f32_e32 v0, 1.0, v0
	v_add_f32_e32 v7, 1.0, v7
	v_rcp_f32_e32 v0, v0
	v_rcp_f32_e32 v7, v7
	v_mul_f32_e32 v49, 0x4038aa3b, v49
	v_exp_f32_e32 v49, v49
	v_fma_f32 v0, v0, -2.0, 1.0
	v_fma_f32 v7, v7, -2.0, 1.0
	v_mul_f32_e32 v125, v93, v0
	v_mul_f32_e32 v0, v94, v48
	;; [unrolled: 1-line block ×5, first 2 shown]
	v_exp_f32_e32 v7, v7
	v_add_f32_e32 v49, 1.0, v49
	v_rcp_f32_e32 v49, v49
	v_accvgpr_read_b32 v50, a42
	v_add_f32_e32 v7, 1.0, v7
	v_rcp_f32_e32 v7, v7
	v_fma_f32 v49, v49, -2.0, 1.0
	v_mul_f32_e32 v50, v94, v50
	v_mul_f32_e32 v120, v93, v49
	v_fma_f32 v7, v7, -2.0, 1.0
	v_mul_f32_e32 v49, v93, v7
	v_mul_f32_e32 v7, v94, v113
	;; [unrolled: 1-line block ×4, first 2 shown]
	v_exp_f32_e32 v50, v50
	v_exp_f32_e32 v7, v7
	v_accvgpr_read_b32 v8, a46
	v_mul_f32_e32 v8, v94, v8
	v_add_f32_e32 v50, 1.0, v50
	v_add_f32_e32 v7, 1.0, v7
	v_rcp_f32_e32 v50, v50
	v_rcp_f32_e32 v7, v7
	v_mul_f32_e32 v8, 0x4038aa3b, v8
	v_mul_f32_e32 v0, 0x4038aa3b, v0
	v_exp_f32_e32 v8, v8
	v_exp_f32_e32 v0, v0
	v_accvgpr_read_b32 v51, a41
	v_fma_f32 v50, v50, -2.0, 1.0
	v_fma_f32 v7, v7, -2.0, 1.0
	v_accvgpr_read_b32 v76, a32
	v_mul_f32_e32 v51, v94, v51
	v_mul_f32_e32 v111, v93, v50
	v_mul_f32_e32 v50, v93, v7
	v_mul_f32_e32 v7, v94, v112
	v_mul_f32_e32 v118, v94, v76
	v_mul_f32_e32 v51, 0x4038aa3b, v51
	v_mul_f32_e32 v7, 0x4038aa3b, v7
	v_mul_f32_e32 v118, 0x4038aa3b, v118
	v_exp_f32_e32 v51, v51
	v_add_f32_e32 v8, 1.0, v8
	v_add_f32_e32 v0, 1.0, v0
	v_exp_f32_e32 v7, v7
	v_exp_f32_e32 v118, v118
	v_rcp_f32_e32 v8, v8
	v_rcp_f32_e32 v0, v0
	v_add_f32_e32 v51, 1.0, v51
	v_add_f32_e32 v7, 1.0, v7
	v_accvgpr_read_b32 v9, a45
	v_add_f32_e32 v118, 1.0, v118
	v_rcp_f32_e32 v51, v51
	v_fma_f32 v8, v8, -2.0, 1.0
	v_fma_f32 v0, v0, -2.0, 1.0
	v_rcp_f32_e32 v7, v7
	v_rcp_f32_e32 v118, v118
	v_mul_f32_e32 v9, v94, v9
	v_mul_f32_e32 v124, v93, v8
	;; [unrolled: 1-line block ×6, first 2 shown]
	v_exp_f32_e32 v9, v9
	v_exp_f32_e32 v0, v0
	v_accvgpr_read_b32 v64, a40
	v_fma_f32 v51, v51, -2.0, 1.0
	v_fma_f32 v7, v7, -2.0, 1.0
	v_accvgpr_read_b32 v77, a33
	v_accvgpr_read_b32 v66, a38
	;; [unrolled: 1-line block ×3, first 2 shown]
	v_fma_f32 v118, v118, -2.0, 1.0
	v_mul_f32_e32 v64, v94, v64
	v_mul_f32_e32 v110, v93, v51
	;; [unrolled: 1-line block ×12, first 2 shown]
	v_exp_f32_e32 v64, v64
	v_add_f32_e32 v9, 1.0, v9
	v_add_f32_e32 v0, 1.0, v0
	v_exp_f32_e32 v7, v7
	v_mul_f32_e32 v1, 0x4038aa3b, v1
	v_exp_f32_e32 v118, v118
	v_exp_f32_e32 v66, v66
	v_rcp_f32_e32 v9, v9
	v_rcp_f32_e32 v0, v0
	v_exp_f32_e32 v1, v1
	v_add_f32_e32 v64, 1.0, v64
	v_add_f32_e32 v7, 1.0, v7
	;; [unrolled: 1-line block ×4, first 2 shown]
	v_rcp_f32_e32 v64, v64
	v_fma_f32 v9, v9, -2.0, 1.0
	v_fma_f32 v0, v0, -2.0, 1.0
	v_rcp_f32_e32 v7, v7
	v_add_f32_e32 v1, 1.0, v1
	v_rcp_f32_e32 v118, v118
	v_rcp_f32_e32 v66, v66
	v_mul_f32_e32 v123, v93, v9
	v_mul_f32_e32 v9, v93, v0
	;; [unrolled: 1-line block ×4, first 2 shown]
	v_rcp_f32_e32 v1, v1
	v_mul_f32_e32 v0, 0x4038aa3b, v0
	v_mul_f32_e32 v20, 0x4038aa3b, v20
	v_exp_f32_e32 v0, v0
	v_exp_f32_e32 v20, v20
	v_accvgpr_read_b32 v65, a39
	v_accvgpr_read_b32 v13, a13
	v_fma_f32 v64, v64, -2.0, 1.0
	v_fma_f32 v7, v7, -2.0, 1.0
	v_accvgpr_read_b32 v59, a34
	v_accvgpr_read_b32 v67, a37
	;; [unrolled: 1-line block ×3, first 2 shown]
	v_fma_f32 v118, v118, -2.0, 1.0
	v_fma_f32 v66, v66, -2.0, 1.0
	v_mul_f32_e32 v65, v94, v65
	v_mul_f32_e32 v106, v93, v64
	;; [unrolled: 1-line block ×4, first 2 shown]
	v_fma_f32 v1, v1, -2.0, 1.0
	v_mul_f32_e32 v77, v93, v118
	v_mul_f32_e32 v118, v94, v59
	v_mul_f32_e32 v67, v94, v67
	v_mul_f32_e32 v59, v93, v66
	v_mul_f32_e32 v65, 0x4038aa3b, v65
	v_mul_f32_e32 v7, 0x4038aa3b, v7
	v_mul_f32_e32 v66, v93, v1
	v_mul_f32_e32 v1, v94, v25
	v_mul_f32_e32 v67, 0x4038aa3b, v67
	v_exp_f32_e32 v65, v65
	v_add_f32_e32 v0, 1.0, v0
	v_add_f32_e32 v20, 1.0, v20
	v_exp_f32_e32 v7, v7
	v_mul_f32_e32 v1, 0x4038aa3b, v1
	v_exp_f32_e32 v67, v67
	v_rcp_f32_e32 v0, v0
	v_rcp_f32_e32 v20, v20
	v_exp_f32_e32 v1, v1
	v_add_f32_e32 v65, 1.0, v65
	v_add_f32_e32 v7, 1.0, v7
	;; [unrolled: 1-line block ×3, first 2 shown]
	v_rcp_f32_e32 v65, v65
	v_fma_f32 v0, v0, -2.0, 1.0
	v_fma_f32 v20, v20, -2.0, 1.0
	v_rcp_f32_e32 v7, v7
	v_add_f32_e32 v1, 1.0, v1
	v_rcp_f32_e32 v67, v67
	v_mul_f32_e32 v24, v93, v0
	v_mul_f32_e32 v0, v94, v56
	;; [unrolled: 1-line block ×4, first 2 shown]
	v_rcp_f32_e32 v1, v1
	v_mul_f32_e32 v118, 0x4038aa3b, v118
	v_mul_f32_e32 v20, 0x4038aa3b, v20
	v_exp_f32_e32 v118, v118
	v_exp_f32_e32 v20, v20
	v_fma_f32 v65, v65, -2.0, 1.0
	v_fma_f32 v7, v7, -2.0, 1.0
	;; [unrolled: 1-line block ×3, first 2 shown]
	v_mul_f32_e32 v104, v93, v65
	v_mul_f32_e32 v65, v93, v7
	v_fma_f32 v1, v1, -2.0, 1.0
	scratch_load_dword v7, off, s32 offset:1136 ; 4-byte Folded Reload
	v_mul_f32_e32 v58, v93, v67
	v_mul_f32_e32 v67, v93, v1
	scratch_load_dword v1, off, s32 offset:1376 ; 4-byte Folded Reload
	v_add_f32_e32 v118, 1.0, v118
	v_add_f32_e32 v20, 1.0, v20
	v_rcp_f32_e32 v118, v118
	v_rcp_f32_e32 v20, v20
	v_accvgpr_read_b32 v57, a35
	v_accvgpr_read_b32 v41, a0
	v_fma_f32 v118, v118, -2.0, 1.0
	v_fma_f32 v20, v20, -2.0, 1.0
	v_mul_f32_e32 v78, v93, v118
	v_mul_f32_e32 v118, v94, v57
	;; [unrolled: 1-line block ×5, first 2 shown]
	v_exp_f32_e32 v20, v20
	v_accvgpr_read_b32 v43, a1
	v_accvgpr_read_b32 v42, a2
	v_accvgpr_read_b32 v40, a3
	v_add_f32_e32 v20, 1.0, v20
	v_rcp_f32_e32 v20, v20
	v_accvgpr_read_b32 v38, a4
	v_accvgpr_read_b32 v122, a5
	v_mul_f32_e32 v118, 0x4038aa3b, v118
	v_fma_f32 v20, v20, -2.0, 1.0
	v_mul_f32_e32 v105, v93, v20
	v_mul_f32_e32 v20, v94, v34
	;; [unrolled: 1-line block ×3, first 2 shown]
	v_exp_f32_e32 v20, v20
	v_exp_f32_e32 v118, v118
	v_accvgpr_read_b32 v44, a36
	v_accvgpr_read_b32 v21, a44
	v_add_f32_e32 v20, 1.0, v20
	v_rcp_f32_e32 v20, v20
	v_add_f32_e32 v118, 1.0, v118
	v_rcp_f32_e32 v118, v118
	v_accvgpr_read_b32 v35, a6
	v_fma_f32 v20, v20, -2.0, 1.0
	v_mul_f32_e32 v107, v93, v20
	v_mul_f32_e32 v20, v94, v109
	;; [unrolled: 1-line block ×3, first 2 shown]
	v_exp_f32_e32 v20, v20
	v_fma_f32 v118, v118, -2.0, 1.0
	v_mul_f32_e32 v79, v93, v118
	v_mul_f32_e32 v118, v94, v44
	v_add_f32_e32 v20, 1.0, v20
	v_rcp_f32_e32 v20, v20
	v_mul_f32_e32 v21, v94, v21
	v_mul_f32_e32 v10, v94, v10
	;; [unrolled: 1-line block ×3, first 2 shown]
	v_fma_f32 v20, v20, -2.0, 1.0
	v_mul_f32_e32 v34, v93, v20
	v_mul_f32_e32 v20, v94, v108
	;; [unrolled: 1-line block ×3, first 2 shown]
	v_exp_f32_e32 v20, v20
	v_mul_f32_e32 v6, v94, v6
	v_mul_f32_e32 v18, 0x4038aa3b, v18
	v_mul_f32_e32 v19, 0x4038aa3b, v19
	v_add_f32_e32 v20, 1.0, v20
	v_rcp_f32_e32 v20, v20
	v_mul_f32_e32 v28, 0x4038aa3b, v28
	v_mul_f32_e32 v29, 0x4038aa3b, v29
	;; [unrolled: 1-line block ×3, first 2 shown]
	v_fma_f32 v20, v20, -2.0, 1.0
	v_mul_f32_e32 v36, v93, v20
	v_mul_f32_e32 v20, v94, v115
	v_mul_f32_e32 v20, 0x4038aa3b, v20
	v_exp_f32_e32 v20, v20
	v_mul_f32_e32 v54, 0x4038aa3b, v54
	v_mul_f32_e32 v55, 0x4038aa3b, v55
	;; [unrolled: 1-line block ×3, first 2 shown]
	v_add_f32_e32 v20, 1.0, v20
	v_rcp_f32_e32 v20, v20
	v_mul_f32_e32 v60, 0x4038aa3b, v60
	v_mul_f32_e32 v61, 0x4038aa3b, v61
	;; [unrolled: 1-line block ×3, first 2 shown]
	v_fma_f32 v20, v20, -2.0, 1.0
	v_mul_f32_e32 v37, v93, v20
	v_mul_f32_e32 v20, v94, v114
	;; [unrolled: 1-line block ×3, first 2 shown]
	v_exp_f32_e32 v20, v20
	s_waitcnt vmcnt(1)
	v_add_u32_e32 v13, 0x80, v7
	s_waitcnt vmcnt(0)
	v_cmp_gt_i32_e64 s[0:1], v13, v1
	scratch_load_dword v1, off, s32 offset:1292 ; 4-byte Folded Reload
	v_add_f32_e32 v20, 1.0, v20
	v_rcp_f32_e32 v20, v20
	v_mul_f32_e32 v63, 0x4038aa3b, v63
	v_mul_f32_e32 v72, 0x4038aa3b, v72
	;; [unrolled: 1-line block ×3, first 2 shown]
	v_fma_f32 v20, v20, -2.0, 1.0
	v_mul_f32_e32 v39, v93, v20
	v_mul_f32_e32 v20, v94, v41
	;; [unrolled: 1-line block ×3, first 2 shown]
	v_exp_f32_e32 v20, v20
	v_mul_f32_e32 v21, 0x4038aa3b, v21
	v_mul_f32_e32 v0, 0x4038aa3b, v0
	;; [unrolled: 1-line block ×3, first 2 shown]
	v_add_f32_e32 v20, 1.0, v20
	v_rcp_f32_e32 v20, v20
	v_mul_f32_e32 v10, 0x4038aa3b, v10
	v_mul_f32_e32 v11, 0x4038aa3b, v11
	;; [unrolled: 1-line block ×3, first 2 shown]
	v_fma_f32 v20, v20, -2.0, 1.0
	v_mul_f32_e32 v41, v93, v20
	v_mul_f32_e32 v20, v94, v43
	v_mul_f32_e32 v20, 0x4038aa3b, v20
	v_exp_f32_e32 v20, v20
	v_exp_f32_e32 v18, v18
	v_exp_f32_e32 v19, v19
	v_exp_f32_e32 v28, v28
	v_add_f32_e32 v20, 1.0, v20
	v_rcp_f32_e32 v20, v20
	v_exp_f32_e32 v29, v29
	v_exp_f32_e32 v53, v53
	v_exp_f32_e32 v54, v54
	v_fma_f32 v20, v20, -2.0, 1.0
	v_mul_f32_e32 v43, v93, v20
	v_mul_f32_e32 v20, v94, v42
	v_mul_f32_e32 v20, 0x4038aa3b, v20
	v_exp_f32_e32 v20, v20
	v_exp_f32_e32 v55, v55
	v_exp_f32_e32 v119, v119
	v_exp_f32_e32 v60, v60
	v_add_f32_e32 v20, 1.0, v20
	v_rcp_f32_e32 v20, v20
	v_exp_f32_e32 v61, v61
	v_exp_f32_e32 v62, v62
	v_exp_f32_e32 v63, v63
	;; [unrolled: 13-line block ×3, first 2 shown]
	v_fma_f32 v20, v20, -2.0, 1.0
	v_mul_f32_e32 v40, v93, v20
	v_mul_f32_e32 v20, v94, v38
	v_mul_f32_e32 v20, 0x4038aa3b, v20
	v_exp_f32_e32 v20, v20
	v_exp_f32_e32 v11, v11
	;; [unrolled: 1-line block ×3, first 2 shown]
	v_add_f32_e32 v18, 1.0, v18
	v_add_f32_e32 v20, 1.0, v20
	v_rcp_f32_e32 v20, v20
	v_add_f32_e32 v19, 1.0, v19
	v_add_f32_e32 v28, 1.0, v28
	;; [unrolled: 1-line block ×3, first 2 shown]
	v_fma_f32 v20, v20, -2.0, 1.0
	v_mul_f32_e32 v38, v93, v20
	v_mul_f32_e32 v20, v94, v122
	;; [unrolled: 1-line block ×3, first 2 shown]
	v_exp_f32_e32 v20, v20
	v_add_f32_e32 v53, 1.0, v53
	v_add_f32_e32 v54, 1.0, v54
	;; [unrolled: 1-line block ×4, first 2 shown]
	v_rcp_f32_e32 v20, v20
	v_add_f32_e32 v119, 1.0, v119
	v_add_f32_e32 v60, 1.0, v60
	;; [unrolled: 1-line block ×3, first 2 shown]
	v_fma_f32 v20, v20, -2.0, 1.0
	v_mul_f32_e32 v44, v93, v20
	v_mul_f32_e32 v20, v94, v35
	;; [unrolled: 1-line block ×3, first 2 shown]
	v_exp_f32_e32 v20, v20
	v_add_f32_e32 v62, 1.0, v62
	v_add_f32_e32 v63, 1.0, v63
	;; [unrolled: 1-line block ×11, first 2 shown]
	v_rcp_f32_e32 v18, v18
	v_rcp_f32_e32 v19, v19
	;; [unrolled: 1-line block ×21, first 2 shown]
	s_waitcnt vmcnt(0)
	v_add_u32_e32 v1, v7, v1
	v_accvgpr_read_b32 v7, a71
	v_min_i32_e32 v1, v1, v7
	v_fma_f32 v18, v18, -2.0, 1.0
	v_fma_f32 v19, v19, -2.0, 1.0
	;; [unrolled: 1-line block ×21, first 2 shown]
	v_cmp_gt_i32_e64 s[2:3], s44, v1
	v_mul_f32_e32 v18, v93, v18
	v_mul_f32_e32 v19, v93, v19
	;; [unrolled: 1-line block ×21, first 2 shown]
	s_or_b64 s[0:1], s[0:1], s[2:3]
	scratch_store_dword off, v13, s32 offset:1300 ; 4-byte Folded Spill
	s_and_saveexec_b64 s[6:7], s[0:1]
	s_cbranch_execz .LBB1_51
; %bb.50:                               ;   in Loop: Header=BB1_45 Depth=1
	scratch_load_dword v1, off, s32 offset:1072 ; 4-byte Folded Reload
	v_accvgpr_read_b32 v21, a71
	s_waitcnt vmcnt(0)
	v_readfirstlane_b32 s0, v1
	scratch_load_dword v1, off, s32 offset:1080 ; 4-byte Folded Reload
	s_waitcnt vmcnt(0)
	v_lshl_add_u32 v20, s0, 5, v1
	scratch_load_dword v1, off, s32 offset:1492 ; 4-byte Folded Reload
	scratch_load_dword v25, off, s32 offset:1136 ; 4-byte Folded Reload
	;; [unrolled: 1-line block ×4, first 2 shown]
	scratch_load_dwordx2 v[112:113], off, s32 offset:1504 ; 8-byte Folded Reload
	v_cmp_gt_i32_e64 s[0:1], v21, v20
	s_waitcnt vmcnt(3)
	v_add_u32_e32 v1, v25, v1
	s_waitcnt vmcnt(2)
	v_sub_u32_e32 v7, v20, v7
	s_waitcnt vmcnt(1)
	v_add_u32_e32 v13, v13, v20
	scratch_load_dword v20, off, s32 offset:1464 ; 4-byte Folded Reload
	s_waitcnt vmcnt(1)
	v_min_i32_e32 v13, v13, v113
	v_cmp_gt_i32_e64 s[4:5], v13, v1
	v_cmp_lt_i32_e64 s[2:3], v7, v1
	s_and_b64 s[4:5], s[4:5], s[0:1]
	s_and_b64 s[2:3], s[4:5], s[2:3]
	v_cndmask_b32_e64 v18, v95, v18, s[2:3]
	s_waitcnt vmcnt(0)
	v_add_u32_e32 v20, v25, v20
	v_cmp_lt_i32_e64 s[2:3], v7, v20
	v_cmp_gt_i32_e64 s[4:5], v13, v20
	scratch_load_dword v20, off, s32 offset:1468 ; 4-byte Folded Reload
	s_and_b64 s[4:5], s[4:5], s[0:1]
	s_and_b64 s[2:3], s[4:5], s[2:3]
	v_cndmask_b32_e64 v19, v95, v19, s[2:3]
	s_waitcnt vmcnt(0)
	v_add_u32_e32 v20, v25, v20
	v_cmp_lt_i32_e64 s[2:3], v7, v20
	v_cmp_gt_i32_e64 s[4:5], v13, v20
	scratch_load_dword v20, off, s32 offset:1472 ; 4-byte Folded Reload
	;; [unrolled: 8-line block ×6, first 2 shown]
	s_and_b64 s[4:5], s[4:5], s[0:1]
	s_and_b64 s[2:3], s[4:5], s[2:3]
	v_cndmask_b32_e64 v55, v95, v55, s[2:3]
	s_waitcnt vmcnt(0)
	v_add_u32_e32 v20, v25, v20
	v_cmp_gt_i32_e64 s[4:5], v13, v20
	v_cmp_lt_i32_e64 s[2:3], v7, v20
	s_and_b64 s[4:5], s[4:5], s[0:1]
	v_add_u32_e32 v20, 16, v1
	s_and_b64 s[2:3], s[4:5], s[2:3]
	v_cmp_gt_i32_e64 s[4:5], v13, v20
	v_cndmask_b32_e64 v119, v95, v119, s[2:3]
	v_cmp_lt_i32_e64 s[2:3], v7, v20
	s_and_b64 s[4:5], s[4:5], s[0:1]
	v_add_u32_e32 v20, 17, v1
	s_and_b64 s[2:3], s[4:5], s[2:3]
	v_cmp_gt_i32_e64 s[4:5], v13, v20
	v_cndmask_b32_e64 v60, v95, v60, s[2:3]
	;; [unrolled: 6-line block ×56, first 2 shown]
	v_cmp_lt_i32_e64 s[2:3], v7, v1
	s_and_b64 s[0:1], s[4:5], s[0:1]
	s_and_b64 s[0:1], s[0:1], s[2:3]
	v_cndmask_b32_e64 v67, v95, v67, s[0:1]
.LBB1_51:                               ;   in Loop: Header=BB1_45 Depth=1
	s_or_b64 exec, exec, s[6:7]
	scratch_load_dword v7, off, s32 offset:1100 ; 4-byte Folded Reload
	v_perm_b32 v13, v14, v30, s59
	v_perm_b32 v14, v14, v30, s60
	scratch_load_dword v30, off, s32 offset:1072 ; 4-byte Folded Reload
	v_perm_b32 v20, v15, v31, s59
	v_perm_b32 v15, v15, v31, s60
	v_max3_f32 v1, v18, s39, v19
	v_max3_f32 v1, v1, v28, v29
	;; [unrolled: 1-line block ×32, first 2 shown]
	v_perm_b32 v21, v16, v32, s59
	v_perm_b32 v16, v16, v32, s60
	;; [unrolled: 1-line block ×4, first 2 shown]
	s_mov_b64 s[8:9], exec
	scratch_load_dword v31, off, s32 offset:1104 ; 4-byte Folded Reload
	s_waitcnt vmcnt(2)
	ds_bpermute_b32 v7, v7, v1
	; sched_barrier mask(0x0000007F)
	s_waitcnt vmcnt(1)
	v_readfirstlane_b32 s10, v30
	scratch_load_dword v30, off, s32 offset:1096 ; 4-byte Folded Reload
	s_waitcnt vmcnt(0)
	v_add_u32_e32 v30, s10, v30
	v_mul_lo_u32 v30, v30, s46
	v_add_lshl_u32 v30, v30, v31, 1
	ds_write2_b32 v30, v13, v14 offset1:4
	ds_write2_b32 v30, v20, v15 offset0:8 offset1:12
	ds_write2_b32 v30, v21, v16 offset0:16 offset1:20
	;; [unrolled: 1-line block ×3, first 2 shown]
	v_accvgpr_read_b32 v13, a104
	s_waitcnt lgkmcnt(4)
	v_max3_f32 v52, v13, v1, v7
	v_accvgpr_read_b32 v1, a112
	v_accvgpr_read_b32 v7, a79
	v_add_u32_e32 v1, v1, v7
.LBB1_52:                               ;   Parent Loop BB1_45 Depth=1
                                        ; =>  This Inner Loop Header: Depth=2
	v_readfirstlane_b32 s4, v22
	v_readfirstlane_b32 s5, v23
	;; [unrolled: 1-line block ×4, first 2 shown]
	v_cmp_eq_u64_e64 s[0:1], s[4:5], v[22:23]
	s_nop 0
	v_cmp_eq_u64_e64 s[2:3], s[6:7], v[46:47]
	s_and_b64 s[0:1], s[0:1], s[2:3]
	s_and_saveexec_b64 s[0:1], s[0:1]
	buffer_load_dwordx4 v[14:17], v1, s[4:7], 0 offen
                                        ; implicit-def: $vgpr1
	s_xor_b64 exec, exec, s[0:1]
	s_cbranch_execnz .LBB1_52
; %bb.53:                               ;   in Loop: Header=BB1_45 Depth=1
	s_mov_b64 exec, s[8:9]
	v_accvgpr_read_b32 v1, a112
	v_accvgpr_read_b32 v7, a109
	v_add_u32_e32 v1, v1, v7
	s_mov_b64 s[8:9], exec
.LBB1_54:                               ;   Parent Loop BB1_45 Depth=1
                                        ; =>  This Inner Loop Header: Depth=2
	v_readfirstlane_b32 s4, v22
	v_readfirstlane_b32 s5, v23
	;; [unrolled: 1-line block ×4, first 2 shown]
	v_cmp_eq_u64_e64 s[0:1], s[4:5], v[22:23]
	s_nop 0
	v_cmp_eq_u64_e64 s[2:3], s[6:7], v[46:47]
	s_and_b64 s[0:1], s[0:1], s[2:3]
	s_and_saveexec_b64 s[0:1], s[0:1]
	buffer_load_dwordx4 v[112:115], v1, s[4:7], 0 offen
                                        ; implicit-def: $vgpr1
	s_xor_b64 exec, exec, s[0:1]
	s_cbranch_execnz .LBB1_54
; %bb.55:                               ;   in Loop: Header=BB1_45 Depth=1
	s_mov_b64 exec, s[8:9]
	; sched_barrier mask(0x00000000)
	v_cmp_neq_f32_e64 s[0:1], s39, v52
	s_lshl_b32 s2, s10, 8
	s_add_i32 s3, s10, s45
	v_cndmask_b32_e64 v32, 0, v52, s[0:1]
	v_sub_f32_e32 v13, v28, v32
	v_exp_f32_e32 v122, v13
	v_sub_f32_e32 v13, v29, v32
	v_exp_f32_e32 v20, v13
	v_sub_f32_e32 v13, v53, v32
	v_exp_f32_e32 v109, v13
	v_sub_f32_e32 v13, v54, v32
	v_exp_f32_e32 v89, v13
	v_sub_f32_e32 v13, v55, v32
	v_exp_f32_e32 v108, v13
	v_sub_f32_e32 v13, v119, v32
	v_sub_f32_e32 v1, v18, v32
	v_exp_f32_e32 v21, v13
	v_sub_f32_e32 v13, v60, v32
	v_sub_f32_e32 v18, v79, v32
	v_exp_f32_e32 v119, v13
	v_sub_f32_e32 v13, v61, v32
	v_exp_f32_e32 v25, v18
	;; [unrolled: 2-line block ×17, first 2 shown]
	v_sub_f32_e32 v18, v123, v32
	v_sub_f32_e32 v0, v0, v32
	v_exp_f32_e32 v63, v18
	v_sub_f32_e32 v18, v124, v32
	v_exp_f32_e32 v124, v0
	;; [unrolled: 2-line block ×7, first 2 shown]
	v_sub_f32_e32 v0, v105, v32
	v_sub_f32_e32 v8, v8, v32
	v_exp_f32_e32 v12, v0
	v_sub_f32_e32 v0, v107, v32
	v_exp_f32_e32 v62, v18
	;; [unrolled: 2-line block ×3, first 2 shown]
	v_sub_f32_e32 v8, v9, v32
	v_sub_f32_e32 v9, v24, v32
	v_exp_f32_e32 v24, v0
	v_sub_f32_e32 v0, v6, v32
	v_sub_f32_e32 v6, v39, v32
	v_exp_f32_e32 v120, v6
	v_sub_f32_e32 v6, v41, v32
	v_exp_f32_e32 v60, v6
	;; [unrolled: 2-line block ×17, first 2 shown]
	v_exp_f32_e32 v30, v6
	v_sub_f32_e32 v6, v64, v32
	v_exp_f32_e32 v29, v6
	v_sub_f32_e32 v6, v65, v32
	;; [unrolled: 2-line block ×4, first 2 shown]
	v_exp_f32_e32 v61, v18
	v_exp_f32_e32 v18, v6
	v_add_f32_e32 v6, v7, v1
	v_add_f32_e32 v6, v122, v6
	;; [unrolled: 1-line block ×8, first 2 shown]
	v_accvgpr_write_b32 a48, v69
	v_add_f32_e32 v6, v69, v6
	v_mov_b32_e32 v69, v70
	v_mov_b32_e32 v70, v71
	;; [unrolled: 1-line block ×3, first 2 shown]
	v_exp_f32_e32 v72, v13
	v_sub_f32_e32 v13, v76, v32
	v_add_f32_e32 v6, v71, v6
	v_exp_f32_e32 v53, v13
	v_sub_f32_e32 v13, v77, v32
	v_add_f32_e32 v6, v70, v6
	v_exp_f32_e32 v76, v13
	v_add_f32_e32 v6, v69, v6
	v_sub_f32_e32 v13, v78, v32
	v_add_f32_e32 v6, v68, v6
	v_exp_f32_e32 v13, v13
	v_add_f32_e32 v6, v55, v6
	v_add_f32_e32 v6, v72, v6
	v_mov_b32_e32 v54, v76
	v_add_f32_e32 v6, v53, v6
	v_add_f32_e32 v6, v54, v6
	v_add_f32_e32 v6, v13, v6
	v_add_f32_e32 v6, v25, v6
	v_add_f32_e32 v6, v88, v6
	v_add_f32_e32 v6, v58, v6
	v_add_f32_e32 v6, v59, v6
	v_add_f32_e32 v6, v104, v6
	v_accvgpr_write_b32 a89, v68
	v_mov_b32_e32 v68, v75
	v_add_f32_e32 v6, v106, v6
	v_add_f32_e32 v6, v68, v6
	;; [unrolled: 1-line block ×5, first 2 shown]
	v_exp_f32_e32 v8, v8
	v_add_f32_e32 v6, v63, v6
	v_exp_f32_e32 v9, v9
	v_add_f32_e32 v6, v62, v6
	v_add_f32_e32 v6, v61, v6
	v_add_f32_e32 v6, v125, v6
	v_add_f32_e32 v6, v8, v6
	v_add_f32_e32 v6, v9, v6
	v_add_f32_e32 v6, v124, v6
	v_add_f32_e32 v6, v123, v6
	v_add_f32_e32 v6, v10, v6
	v_add_f32_e32 v6, v11, v6
	v_add_f32_e32 v6, v56, v6
	v_add_f32_e32 v6, v121, v6
	v_add_f32_e32 v6, v12, v6
	v_exp_f32_e32 v0, v0
	v_add_f32_e32 v6, v24, v6
	v_add_f32_e32 v6, v107, v6
	;; [unrolled: 1-line block ×21, first 2 shown]
	v_accvgpr_write_b32 a96, v18
	v_add_f32_e32 v18, v18, v6
	scratch_load_dword v6, off, s32 offset:1100 ; 4-byte Folded Reload
	v_accvgpr_write_b32 a114, v19
	scratch_load_dword v19, off, s32 offset:1392 ; 4-byte Folded Reload
	scratch_load_dword v65, off, s32 offset:1428 ; 4-byte Folded Reload
	;; [unrolled: 1-line block ×3, first 2 shown]
	v_accvgpr_write_b32 a88, v18
	v_accvgpr_write_b32 a108, v29
	;; [unrolled: 1-line block ×23, first 2 shown]
	scratch_load_dwordx2 v[28:29], off, s32 offset:1444 ; 8-byte Folded Reload
	s_waitcnt vmcnt(4)
	ds_bpermute_b32 v6, v6, v18
	s_waitcnt vmcnt(1)
	v_or_b32_e32 v64, s2, v64
	s_waitcnt lgkmcnt(0)
	v_accvgpr_write_b32 a103, v6
	scratch_load_dword v6, off, s32 offset:1440 ; 4-byte Folded Reload
	v_add_u32_e32 v64, v65, v64
	s_waitcnt vmcnt(0)
	v_add_u32_e32 v18, s38, v6
	scratch_load_dword v6, off, s32 offset:1400 ; 4-byte Folded Reload
	v_ashrrev_i32_e32 v33, 5, v18
	s_waitcnt vmcnt(0)
	v_or_b32_e32 v6, s2, v6
	v_add_u32_e32 v6, v6, v19
	v_mad_u64_u32 v[18:19], s[0:1], v28, s61, 0
	s_mul_hi_u32 s0, s3, 0xcd9e8d57
	s_xor_b32 s0, s13, s0
	v_xor_b32_e32 v28, s0, v29
	v_xor_b32_e32 v29, v33, v19
	s_mul_i32 s3, s3, 0xcd9e8d57
	v_xor_b32_e32 v30, s15, v29
	v_mad_u64_u32 v[28:29], s[0:1], v28, s61, 0
	v_mad_u64_u32 v[34:35], s[0:1], v30, s62, 0
	s_xor_b32 s16, s3, s48
	v_xor_b32_e32 v29, s49, v29
	v_xor_b32_e32 v30, s16, v35
	v_xor_b32_e32 v18, v29, v18
	v_mad_u64_u32 v[36:37], s[0:1], v30, s61, 0
	v_mad_u64_u32 v[30:31], s[0:1], v18, s62, 0
	v_xor_b32_e32 v18, s50, v31
	v_xor_b32_e32 v31, s51, v37
	v_xor_b32_e32 v29, v18, v34
	v_xor_b32_e32 v31, v31, v28
	v_mad_u64_u32 v[34:35], s[0:1], v29, s61, 0
	v_mad_u64_u32 v[38:39], s[0:1], v31, s62, 0
	v_xor_b32_e32 v29, s52, v39
	;; [unrolled: 6-line block ×5, first 2 shown]
	v_xor_b32_e32 v31, v37, v34
	v_xor_b32_e32 v29, s47, v29
	;; [unrolled: 1-line block ×3, first 2 shown]
	v_lshrrev_b32_e32 v34, 8, v29
	v_lshrrev_b32_e32 v35, 24, v29
	v_lshrrev_b32_e32 v37, 8, v48
	v_lshrrev_b32_e32 v38, 24, v48
	v_lshrrev_b32_e32 v39, 8, v31
	v_lshrrev_b32_e32 v49, 24, v31
	v_lshrrev_b32_e32 v50, 8, v36
	v_lshrrev_b32_e32 v51, 24, v36
	ds_write_b8 v64, v29
	ds_write_b8 v64, v34 offset:8
	ds_write_b8_d16_hi v64, v29 offset:16
	ds_write_b8 v64, v35 offset:24
	ds_write_b8 v64, v48 offset:32
	ds_write_b8 v64, v37 offset:40
	ds_write_b8_d16_hi v64, v48 offset:48
	ds_write_b8 v64, v38 offset:56
	ds_write_b8 v64, v31 offset:128
	ds_write_b8 v64, v39 offset:136
	ds_write_b8_d16_hi v64, v31 offset:144
	ds_write_b8 v64, v49 offset:152
	ds_write_b8 v64, v36 offset:160
	ds_write_b8 v64, v50 offset:168
	ds_write_b8_d16_hi v64, v36 offset:176
	ds_write_b8 v64, v51 offset:184
	s_waitcnt lgkmcnt(0)
	s_barrier
	scratch_load_dword v29, off, s32 offset:1396 ; 4-byte Folded Reload
	s_waitcnt vmcnt(0)
	v_add_u32_e32 v31, v29, v6
	ds_read_b64 v[74:75], v6 offset:27648
	ds_read_b64 v[60:61], v31 offset:27648
	s_waitcnt lgkmcnt(0)
	s_barrier
	s_and_saveexec_b64 s[8:9], vcc
	s_cbranch_execz .LBB1_61
; %bb.56:                               ;   in Loop: Header=BB1_45 Depth=1
	scratch_load_dword v29, off, s32 offset:1072 ; 4-byte Folded Reload
	scratch_load_dword v34, off, s32 offset:1092 ; 4-byte Folded Reload
	v_accvgpr_read_b32 v35, a71
	s_mov_b64 s[10:11], exec
	s_waitcnt vmcnt(1)
	v_readfirstlane_b32 s0, v29
	scratch_load_dword v29, off, s32 offset:1080 ; 4-byte Folded Reload
	s_waitcnt vmcnt(0)
	v_lshl_add_u32 v29, s0, 5, v29
	v_cmp_le_i32_e64 s[0:1], v35, v29
	v_mul_lo_u32 v34, v29, v34
	s_nop 0
	v_cndmask_b32_e64 v29, 0, 1, s[0:1]
	v_lshl_add_u32 v29, v29, 31, v34
	scratch_load_dword v34, off, s32 offset:1132 ; 4-byte Folded Reload
	s_waitcnt vmcnt(0)
	v_add3_u32 v29, v34, s38, v29
.LBB1_57:                               ;   Parent Loop BB1_45 Depth=1
                                        ; =>  This Inner Loop Header: Depth=2
	v_readfirstlane_b32 s4, v116
	v_readfirstlane_b32 s5, v117
	;; [unrolled: 1-line block ×4, first 2 shown]
	v_cmp_eq_u64_e64 s[0:1], s[4:5], v[116:117]
	s_nop 0
	v_cmp_eq_u64_e64 s[2:3], s[6:7], v[26:27]
	s_and_b64 s[0:1], s[0:1], s[2:3]
	s_and_saveexec_b64 s[0:1], s[0:1]
	buffer_store_dwordx2 v[74:75], v29, s[4:7], 0 offen
	s_xor_b64 exec, exec, s[0:1]
	s_cbranch_execnz .LBB1_57
; %bb.58:                               ;   in Loop: Header=BB1_45 Depth=1
	s_mov_b64 exec, s[10:11]
	s_mov_b64 s[10:11], exec
.LBB1_59:                               ;   Parent Loop BB1_45 Depth=1
                                        ; =>  This Inner Loop Header: Depth=2
	v_readfirstlane_b32 s4, v116
	v_readfirstlane_b32 s5, v117
	;; [unrolled: 1-line block ×4, first 2 shown]
	v_cmp_eq_u64_e64 s[0:1], s[4:5], v[116:117]
	s_nop 0
	v_cmp_eq_u64_e64 s[2:3], s[6:7], v[26:27]
	s_and_b64 s[0:1], s[0:1], s[2:3]
	s_and_saveexec_b64 s[0:1], s[0:1]
	buffer_store_dwordx2 v[60:61], v29, s[4:7], 0 offen offset:16
                                        ; implicit-def: $vgpr29
	s_xor_b64 exec, exec, s[0:1]
	s_cbranch_execnz .LBB1_59
; %bb.60:                               ;   in Loop: Header=BB1_45 Depth=1
	s_mov_b64 exec, s[10:11]
.LBB1_61:                               ;   in Loop: Header=BB1_45 Depth=1
	s_or_b64 exec, exec, s[8:9]
	scratch_load_dword v110, off, s32 offset:1072 ; 4-byte Folded Reload
	scratch_load_dword v65, off, s32 offset:1076 ; 4-byte Folded Reload
	v_or_b32_e32 v29, 1, v33
	v_xor_b32_e32 v29, v29, v19
	v_xor_b32_e32 v29, s15, v29
	v_mad_u64_u32 v[34:35], s[0:1], v29, s62, 0
	v_xor_b32_e32 v29, s16, v35
	v_mad_u64_u32 v[36:37], s[0:1], v29, s61, 0
	v_xor_b32_e32 v29, v18, v34
	v_xor_b32_e32 v34, s51, v37
	v_xor_b32_e32 v37, v34, v28
	v_mad_u64_u32 v[34:35], s[0:1], v29, s61, 0
	v_mad_u64_u32 v[38:39], s[0:1], v37, s62, 0
	v_xor_b32_e32 v29, s52, v39
	v_xor_b32_e32 v35, s53, v35
	v_xor_b32_e32 v29, v29, v30
	v_xor_b32_e32 v35, v35, v36
	v_mad_u64_u32 v[36:37], s[0:1], v29, s61, 0
	v_mad_u64_u32 v[48:49], s[0:1], v35, s62, 0
	v_xor_b32_e32 v29, s54, v49
	;; [unrolled: 6-line block ×4, first 2 shown]
	v_xor_b32_e32 v34, v37, v34
	v_xor_b32_e32 v29, s47, v29
	;; [unrolled: 1-line block ×3, first 2 shown]
	v_lshrrev_b32_e32 v35, 8, v29
	v_lshrrev_b32_e32 v37, 24, v29
	;; [unrolled: 1-line block ×8, first 2 shown]
	s_waitcnt vmcnt(1)
	v_readfirstlane_b32 s0, v110
	s_waitcnt vmcnt(0)
	s_nop 0
	v_lshl_add_u32 v65, s0, 8, v65
	ds_write_b8 v65, v29
	ds_write_b8 v65, v35 offset:8
	ds_write_b8_d16_hi v65, v29 offset:16
	ds_write_b8 v65, v37 offset:24
	ds_write_b8 v65, v48 offset:32
	ds_write_b8 v65, v38 offset:40
	ds_write_b8_d16_hi v65, v48 offset:48
	ds_write_b8 v65, v39 offset:56
	ds_write_b8 v65, v34 offset:128
	ds_write_b8 v65, v49 offset:136
	ds_write_b8_d16_hi v65, v34 offset:144
	ds_write_b8 v65, v50 offset:152
	ds_write_b8 v65, v36 offset:160
	ds_write_b8 v65, v51 offset:168
	ds_write_b8_d16_hi v65, v36 offset:176
	ds_write_b8 v65, v64 offset:184
	s_waitcnt lgkmcnt(0)
	s_barrier
	ds_read_b64 v[72:73], v6 offset:27648
	ds_read_b64 v[62:63], v31 offset:27648
	s_waitcnt lgkmcnt(0)
	s_barrier
	s_and_saveexec_b64 s[8:9], vcc
	s_cbranch_execz .LBB1_67
; %bb.62:                               ;   in Loop: Header=BB1_45 Depth=1
	scratch_load_dword v29, off, s32 offset:1080 ; 4-byte Folded Reload
	scratch_load_dword v34, off, s32 offset:1092 ; 4-byte Folded Reload
	v_readfirstlane_b32 s0, v110
	v_accvgpr_read_b32 v35, a71
	s_mov_b64 s[10:11], exec
	s_waitcnt vmcnt(1)
	v_lshl_add_u32 v29, s0, 5, v29
	v_cmp_le_i32_e64 s[0:1], v35, v29
	s_waitcnt vmcnt(0)
	v_mul_lo_u32 v34, v29, v34
	v_cndmask_b32_e64 v29, 0, 1, s[0:1]
	v_lshl_add_u32 v29, v29, 31, v34
	scratch_load_dword v34, off, s32 offset:1132 ; 4-byte Folded Reload
	s_waitcnt vmcnt(0)
	v_add3_u32 v29, v34, s38, v29
.LBB1_63:                               ;   Parent Loop BB1_45 Depth=1
                                        ; =>  This Inner Loop Header: Depth=2
	v_readfirstlane_b32 s4, v116
	v_readfirstlane_b32 s5, v117
	;; [unrolled: 1-line block ×4, first 2 shown]
	v_cmp_eq_u64_e64 s[0:1], s[4:5], v[116:117]
	s_nop 0
	v_cmp_eq_u64_e64 s[2:3], s[6:7], v[26:27]
	s_and_b64 s[0:1], s[0:1], s[2:3]
	s_and_saveexec_b64 s[0:1], s[0:1]
	buffer_store_dwordx2 v[72:73], v29, s[4:7], 0 offen offset:32
	s_xor_b64 exec, exec, s[0:1]
	s_cbranch_execnz .LBB1_63
; %bb.64:                               ;   in Loop: Header=BB1_45 Depth=1
	s_mov_b64 exec, s[10:11]
	s_mov_b64 s[10:11], exec
.LBB1_65:                               ;   Parent Loop BB1_45 Depth=1
                                        ; =>  This Inner Loop Header: Depth=2
	v_readfirstlane_b32 s4, v116
	v_readfirstlane_b32 s5, v117
	;; [unrolled: 1-line block ×4, first 2 shown]
	v_cmp_eq_u64_e64 s[0:1], s[4:5], v[116:117]
	s_nop 0
	v_cmp_eq_u64_e64 s[2:3], s[6:7], v[26:27]
	s_and_b64 s[0:1], s[0:1], s[2:3]
	s_and_saveexec_b64 s[0:1], s[0:1]
	buffer_store_dwordx2 v[62:63], v29, s[4:7], 0 offen offset:48
                                        ; implicit-def: $vgpr29
	s_xor_b64 exec, exec, s[0:1]
	s_cbranch_execnz .LBB1_65
; %bb.66:                               ;   in Loop: Header=BB1_45 Depth=1
	s_mov_b64 exec, s[10:11]
	scratch_load_dword v110, off, s32 offset:1072 ; 4-byte Folded Reload
.LBB1_67:                               ;   in Loop: Header=BB1_45 Depth=1
	s_or_b64 exec, exec, s[8:9]
	scratch_load_dword v65, off, s32 offset:1076 ; 4-byte Folded Reload
	v_or_b32_e32 v29, 2, v33
	v_xor_b32_e32 v29, v29, v19
	v_xor_b32_e32 v29, s15, v29
	v_mad_u64_u32 v[34:35], s[0:1], v29, s62, 0
	v_xor_b32_e32 v29, s16, v35
	v_mad_u64_u32 v[36:37], s[0:1], v29, s61, 0
	v_xor_b32_e32 v29, v18, v34
	v_xor_b32_e32 v34, s51, v37
	v_xor_b32_e32 v37, v34, v28
	v_mad_u64_u32 v[34:35], s[0:1], v29, s61, 0
	v_mad_u64_u32 v[38:39], s[0:1], v37, s62, 0
	v_xor_b32_e32 v29, s52, v39
	v_xor_b32_e32 v35, s53, v35
	v_xor_b32_e32 v29, v29, v30
	v_xor_b32_e32 v35, v35, v36
	v_mad_u64_u32 v[36:37], s[0:1], v29, s61, 0
	v_mad_u64_u32 v[48:49], s[0:1], v35, s62, 0
	v_xor_b32_e32 v29, s54, v49
	;; [unrolled: 6-line block ×4, first 2 shown]
	v_xor_b32_e32 v34, v37, v34
	s_waitcnt vmcnt(1)
	v_readfirstlane_b32 s0, v110
	v_xor_b32_e32 v29, s47, v29
	v_xor_b32_e32 v34, s58, v34
	v_lshrrev_b32_e32 v35, 8, v29
	v_lshrrev_b32_e32 v37, 24, v29
	;; [unrolled: 1-line block ×8, first 2 shown]
	s_waitcnt vmcnt(0)
	v_lshl_add_u32 v65, s0, 8, v65
	ds_write_b8 v65, v29
	ds_write_b8 v65, v35 offset:8
	ds_write_b8_d16_hi v65, v29 offset:16
	ds_write_b8 v65, v37 offset:24
	ds_write_b8 v65, v48 offset:32
	ds_write_b8 v65, v38 offset:40
	ds_write_b8_d16_hi v65, v48 offset:48
	ds_write_b8 v65, v39 offset:56
	ds_write_b8 v65, v34 offset:128
	ds_write_b8 v65, v49 offset:136
	ds_write_b8_d16_hi v65, v34 offset:144
	ds_write_b8 v65, v50 offset:152
	ds_write_b8 v65, v36 offset:160
	ds_write_b8 v65, v51 offset:168
	ds_write_b8_d16_hi v65, v36 offset:176
	ds_write_b8 v65, v64 offset:184
	s_waitcnt lgkmcnt(0)
	s_barrier
	ds_read_b64 v[76:77], v6 offset:27648
	ds_read_b64 v[78:79], v31 offset:27648
	s_waitcnt lgkmcnt(0)
	s_barrier
	s_and_saveexec_b64 s[8:9], vcc
	s_cbranch_execz .LBB1_73
; %bb.68:                               ;   in Loop: Header=BB1_45 Depth=1
	scratch_load_dword v29, off, s32 offset:1080 ; 4-byte Folded Reload
	scratch_load_dword v34, off, s32 offset:1092 ; 4-byte Folded Reload
	v_readfirstlane_b32 s0, v110
	v_accvgpr_read_b32 v35, a71
	s_mov_b64 s[10:11], exec
	s_waitcnt vmcnt(1)
	v_lshl_add_u32 v29, s0, 5, v29
	v_cmp_le_i32_e64 s[0:1], v35, v29
	s_waitcnt vmcnt(0)
	v_mul_lo_u32 v34, v29, v34
	v_cndmask_b32_e64 v29, 0, 1, s[0:1]
	v_lshl_add_u32 v29, v29, 31, v34
	scratch_load_dword v34, off, s32 offset:1132 ; 4-byte Folded Reload
	s_waitcnt vmcnt(0)
	v_add3_u32 v29, v34, s38, v29
.LBB1_69:                               ;   Parent Loop BB1_45 Depth=1
                                        ; =>  This Inner Loop Header: Depth=2
	v_readfirstlane_b32 s4, v116
	v_readfirstlane_b32 s5, v117
	;; [unrolled: 1-line block ×4, first 2 shown]
	v_cmp_eq_u64_e64 s[0:1], s[4:5], v[116:117]
	s_nop 0
	v_cmp_eq_u64_e64 s[2:3], s[6:7], v[26:27]
	s_and_b64 s[0:1], s[0:1], s[2:3]
	s_and_saveexec_b64 s[0:1], s[0:1]
	buffer_store_dwordx2 v[76:77], v29, s[4:7], 0 offen offset:64
	s_xor_b64 exec, exec, s[0:1]
	s_cbranch_execnz .LBB1_69
; %bb.70:                               ;   in Loop: Header=BB1_45 Depth=1
	s_mov_b64 exec, s[10:11]
	s_mov_b64 s[10:11], exec
.LBB1_71:                               ;   Parent Loop BB1_45 Depth=1
                                        ; =>  This Inner Loop Header: Depth=2
	v_readfirstlane_b32 s4, v116
	v_readfirstlane_b32 s5, v117
	;; [unrolled: 1-line block ×4, first 2 shown]
	v_cmp_eq_u64_e64 s[0:1], s[4:5], v[116:117]
	s_nop 0
	v_cmp_eq_u64_e64 s[2:3], s[6:7], v[26:27]
	s_and_b64 s[0:1], s[0:1], s[2:3]
	s_and_saveexec_b64 s[0:1], s[0:1]
	buffer_store_dwordx2 v[78:79], v29, s[4:7], 0 offen offset:80
                                        ; implicit-def: $vgpr29
	s_xor_b64 exec, exec, s[0:1]
	s_cbranch_execnz .LBB1_71
; %bb.72:                               ;   in Loop: Header=BB1_45 Depth=1
	s_mov_b64 exec, s[10:11]
	scratch_load_dword v110, off, s32 offset:1072 ; 4-byte Folded Reload
.LBB1_73:                               ;   in Loop: Header=BB1_45 Depth=1
	s_or_b64 exec, exec, s[8:9]
	scratch_load_dword v48, off, s32 offset:1076 ; 4-byte Folded Reload
	v_or_b32_e32 v29, 3, v33
	v_xor_b32_e32 v19, v29, v19
	v_xor_b32_e32 v19, s15, v19
	v_mad_u64_u32 v[34:35], s[0:1], v19, s62, 0
	v_xor_b32_e32 v19, s16, v35
	v_mad_u64_u32 v[36:37], s[0:1], v19, s61, 0
	v_xor_b32_e32 v18, v18, v34
	v_xor_b32_e32 v19, s51, v37
	v_xor_b32_e32 v28, v19, v28
	v_mad_u64_u32 v[18:19], s[0:1], v18, s61, 0
	v_mad_u64_u32 v[28:29], s[0:1], v28, s62, 0
	v_xor_b32_e32 v19, s53, v19
	v_xor_b32_e32 v29, s52, v29
	v_xor_b32_e32 v19, v19, v36
	v_xor_b32_e32 v29, v29, v30
	v_mad_u64_u32 v[36:37], s[0:1], v19, s62, 0
	v_mad_u64_u32 v[34:35], s[0:1], v29, s61, 0
	v_xor_b32_e32 v19, s54, v37
	;; [unrolled: 6-line block ×4, first 2 shown]
	v_xor_b32_e32 v19, s47, v19
	v_xor_b32_e32 v18, v35, v18
	s_waitcnt vmcnt(1)
	v_readfirstlane_b32 s0, v110
	v_xor_b32_e32 v18, s58, v18
	v_lshrrev_b32_e32 v28, 8, v19
	v_lshrrev_b32_e32 v29, 24, v19
	v_lshrrev_b32_e32 v30, 8, v36
	v_lshrrev_b32_e32 v33, 24, v36
	v_lshrrev_b32_e32 v35, 8, v18
	v_lshrrev_b32_e32 v37, 24, v18
	v_lshrrev_b32_e32 v38, 8, v34
	v_lshrrev_b32_e32 v39, 24, v34
	s_waitcnt vmcnt(0)
	v_lshl_add_u32 v48, s0, 8, v48
	ds_write_b8 v48, v19
	ds_write_b8 v48, v28 offset:8
	ds_write_b8_d16_hi v48, v19 offset:16
	ds_write_b8 v48, v29 offset:24
	ds_write_b8 v48, v36 offset:32
	ds_write_b8 v48, v30 offset:40
	ds_write_b8_d16_hi v48, v36 offset:48
	ds_write_b8 v48, v33 offset:56
	ds_write_b8 v48, v18 offset:128
	;; [unrolled: 4-line block ×3, first 2 shown]
	ds_write_b8 v48, v38 offset:168
	ds_write_b8_d16_hi v48, v34 offset:176
	ds_write_b8 v48, v39 offset:184
	s_waitcnt lgkmcnt(0)
	s_barrier
	ds_read_b64 v[28:29], v6 offset:27648
	ds_read_b64 v[18:19], v31 offset:27648
	s_waitcnt lgkmcnt(0)
	s_barrier
	s_and_saveexec_b64 s[8:9], vcc
	s_cbranch_execz .LBB1_79
; %bb.74:                               ;   in Loop: Header=BB1_45 Depth=1
	scratch_load_dword v6, off, s32 offset:1080 ; 4-byte Folded Reload
	scratch_load_dword v30, off, s32 offset:1092 ; 4-byte Folded Reload
	v_readfirstlane_b32 s0, v110
	v_accvgpr_read_b32 v31, a71
	s_mov_b64 s[10:11], exec
	s_waitcnt vmcnt(1)
	v_lshl_add_u32 v6, s0, 5, v6
	v_cmp_le_i32_e64 s[0:1], v31, v6
	s_waitcnt vmcnt(0)
	v_mul_lo_u32 v30, v6, v30
	v_cndmask_b32_e64 v6, 0, 1, s[0:1]
	v_lshl_add_u32 v6, v6, 31, v30
	scratch_load_dword v30, off, s32 offset:1132 ; 4-byte Folded Reload
	s_waitcnt vmcnt(0)
	v_add3_u32 v6, v30, s38, v6
.LBB1_75:                               ;   Parent Loop BB1_45 Depth=1
                                        ; =>  This Inner Loop Header: Depth=2
	v_readfirstlane_b32 s4, v116
	v_readfirstlane_b32 s5, v117
	;; [unrolled: 1-line block ×4, first 2 shown]
	v_cmp_eq_u64_e64 s[0:1], s[4:5], v[116:117]
	s_nop 0
	v_cmp_eq_u64_e64 s[2:3], s[6:7], v[26:27]
	s_and_b64 s[0:1], s[0:1], s[2:3]
	s_and_saveexec_b64 s[0:1], s[0:1]
	buffer_store_dwordx2 v[28:29], v6, s[4:7], 0 offen offset:96
	s_xor_b64 exec, exec, s[0:1]
	s_cbranch_execnz .LBB1_75
; %bb.76:                               ;   in Loop: Header=BB1_45 Depth=1
	s_mov_b64 exec, s[10:11]
	s_mov_b64 s[10:11], exec
.LBB1_77:                               ;   Parent Loop BB1_45 Depth=1
                                        ; =>  This Inner Loop Header: Depth=2
	v_readfirstlane_b32 s4, v116
	v_readfirstlane_b32 s5, v117
	;; [unrolled: 1-line block ×4, first 2 shown]
	v_cmp_eq_u64_e64 s[0:1], s[4:5], v[116:117]
	s_nop 0
	v_cmp_eq_u64_e64 s[2:3], s[6:7], v[26:27]
	s_and_b64 s[0:1], s[0:1], s[2:3]
	s_and_saveexec_b64 s[0:1], s[0:1]
	buffer_store_dwordx2 v[18:19], v6, s[4:7], 0 offen offset:112
                                        ; implicit-def: $vgpr6
	s_xor_b64 exec, exec, s[0:1]
	s_cbranch_execnz .LBB1_77
; %bb.78:                               ;   in Loop: Header=BB1_45 Depth=1
	s_mov_b64 exec, s[10:11]
	scratch_load_dword v110, off, s32 offset:1072 ; 4-byte Folded Reload
.LBB1_79:                               ;   in Loop: Header=BB1_45 Depth=1
	s_or_b64 exec, exec, s[8:9]
	scratch_load_dwordx2 v[30:31], off, s32 offset:1188 ; 8-byte Folded Reload
	v_accvgpr_read_b32 v6, a104
	v_sub_f32_e32 v6, v6, v32
	v_exp_f32_e32 v118, v6
	v_lshrrev_b32_e32 v6, 8, v74
	v_mul_f32_e32 v1, v92, v1
	v_cmp_ge_u16_sdwa s[0:1], v126, v6 src0_sel:BYTE_0 src1_sel:BYTE_0
	v_mul_f32_e32 v6, v92, v122
	v_mul_f32_e32 v7, v92, v7
	v_cmp_ge_u16_sdwa s[4:5], v126, v74 src0_sel:BYTE_0 src1_sel:BYTE_0
	v_cndmask_b32_e64 v1, 0, v1, s[0:1]
	v_cmp_ge_u16_sdwa s[0:1], v126, v74 src0_sel:BYTE_0 src1_sel:BYTE_3
	v_cndmask_b32_e64 v7, 0, v7, s[4:5]
	v_lshrrev_b32_e32 v49, 8, v78
	v_mul_f32_e32 v50, v92, v125
	v_mul_f32_e32 v65, v92, v56
	v_cmp_ge_u16_sdwa s[16:17], v126, v77 src0_sel:BYTE_0 src1_sel:BYTE_3
	v_cmp_ge_u16_sdwa s[18:19], v126, v76 src0_sel:BYTE_0 src1_sel:BYTE_0
	v_and_b32_sdwa v48, v78, s63 dst_sel:DWORD dst_unused:UNUSED_PAD src0_sel:WORD_1 src1_sel:DWORD
	v_cmp_ge_u16_sdwa s[28:29], v126, v49 src0_sel:BYTE_0 src1_sel:BYTE_0
	v_cndmask_b32_e64 v49, 0, v65, s[16:17]
	v_mul_f32_e32 v64, v92, v123
	v_cmp_ge_u16_sdwa s[10:11], v126, v77 src0_sel:BYTE_0 src1_sel:BYTE_0
	v_and_b32_sdwa v67, v77, s63 dst_sel:DWORD dst_unused:UNUSED_PAD src0_sel:WORD_1 src1_sel:DWORD
	v_lshrrev_b32_e32 v56, 8, v77
	v_and_b32_sdwa v77, v76, s63 dst_sel:DWORD dst_unused:UNUSED_PAD src0_sel:WORD_1 src1_sel:DWORD
	v_mul_f32_e32 v51, v92, v124
	v_cmp_ge_u16_sdwa s[8:9], v126, v76 src0_sel:BYTE_0 src1_sel:BYTE_3
	v_mul_f32_e32 v9, v92, v9
	v_cmp_ge_u16_sdwa s[22:23], v126, v77 src0_sel:BYTE_0 src1_sel:DWORD
	v_mul_f32_e32 v12, v92, v12
	v_lshrrev_b32_e32 v76, 8, v76
	v_cmp_ge_u16_sdwa s[20:21], v126, v76 src0_sel:BYTE_0 src1_sel:BYTE_0
	v_mul_f32_e32 v76, v92, v10
	v_cmp_ge_u16_sdwa s[24:25], v126, v56 src0_sel:BYTE_0 src1_sel:BYTE_0
	v_mul_f32_e32 v77, v92, v11
	v_cmp_ge_u16_sdwa s[26:27], v126, v67 src0_sel:BYTE_0 src1_sel:DWORD
	v_cmp_ge_u16_sdwa s[30:31], v126, v48 src0_sel:BYTE_0 src1_sel:DWORD
	v_cndmask_b32_e64 v11, 0, v76, s[24:25]
	v_cndmask_b32_e64 v48, 0, v77, s[26:27]
	v_mul_f32_e32 v0, v92, v0
	v_mul_f32_e32 v24, v92, v24
	;; [unrolled: 1-line block ×5, first 2 shown]
	v_cndmask_b32_e64 v10, 0, v64, s[10:11]
	v_cndmask_b32_e64 v64, 0, v24, s[30:31]
	v_lshrrev_b32_e32 v24, 8, v72
	v_mul_f32_e32 v105, v92, v25
	v_mul_f32_e32 v88, v92, v88
	;; [unrolled: 1-line block ×5, first 2 shown]
	v_cvt_pkrtz_f16_f32 v10, v10, v11
	v_cvt_pkrtz_f16_f32 v11, v48, v49
	s_waitcnt vmcnt(0)
	v_pk_mul_f32 v[44:45], v[30:31], v[118:119] op_sel_hi:[1,0]
	scratch_load_dwordx2 v[30:31], off, s32 offset:1180 ; 8-byte Folded Reload
	s_waitcnt vmcnt(0)
	v_pk_mul_f32 v[42:43], v[30:31], v[118:119] op_sel_hi:[1,0]
	scratch_load_dwordx2 v[30:31], off, s32 offset:1172 ; 8-byte Folded Reload
	s_waitcnt vmcnt(0)
	v_pk_mul_f32 v[40:41], v[30:31], v[118:119] op_sel_hi:[1,0]
	v_accvgpr_read_b32 v30, a122
	v_accvgpr_read_b32 v31, a123
	v_pk_mul_f32 v[38:39], v[30:31], v[118:119] op_sel_hi:[1,0]
	v_accvgpr_read_b32 v30, a86
	v_accvgpr_read_b32 v31, a87
	;; [unrolled: 3-line block ×4, first 2 shown]
	v_pk_mul_f32 v[32:33], v[30:31], v[118:119] op_sel_hi:[1,0]
	scratch_load_dwordx2 v[30:31], off, s32 offset:1164 ; 8-byte Folded Reload
	s_waitcnt vmcnt(0)
	v_pk_mul_f32 v[30:31], v[30:31], v[118:119] op_sel_hi:[1,0]
	s_nop 0
	v_accvgpr_write_b32 a0, v30
	v_accvgpr_write_b32 a1, v31
	v_accvgpr_write_b32 a2, v32
	v_accvgpr_write_b32 a3, v33
	v_accvgpr_write_b32 a4, v34
	v_accvgpr_write_b32 a5, v35
	v_accvgpr_write_b32 a6, v36
	v_accvgpr_write_b32 a7, v37
	v_accvgpr_write_b32 a8, v38
	v_accvgpr_write_b32 a9, v39
	v_accvgpr_write_b32 a10, v40
	v_accvgpr_write_b32 a11, v41
	v_accvgpr_write_b32 a12, v42
	v_accvgpr_write_b32 a13, v43
	v_accvgpr_write_b32 a14, v44
	v_accvgpr_write_b32 a15, v45
	v_and_b32_sdwa v30, v74, s63 dst_sel:DWORD dst_unused:UNUSED_PAD src0_sel:WORD_1 src1_sel:DWORD
	v_cmp_ge_u16_sdwa s[2:3], v126, v30 src0_sel:BYTE_0 src1_sel:DWORD
	v_mul_f32_e32 v31, v92, v89
	v_mul_f32_e32 v74, v92, v120
	v_cndmask_b32_e64 v30, 0, v6, s[2:3]
	v_mul_f32_e32 v6, v92, v20
	v_cndmask_b32_e64 v20, 0, v6, s[0:1]
	v_cvt_pkrtz_f16_f32 v6, v7, v1
	v_cvt_pkrtz_f16_f32 v7, v30, v20
	v_mul_f32_e32 v20, v92, v21
	v_and_b32_sdwa v21, v75, s63 dst_sel:DWORD dst_unused:UNUSED_PAD src0_sel:WORD_1 src1_sel:DWORD
	v_lshrrev_b32_e32 v30, 8, v75
	v_mul_f32_e32 v1, v92, v109
	v_cmp_ge_u16_sdwa s[0:1], v126, v75 src0_sel:BYTE_0 src1_sel:BYTE_3
	v_cmp_ge_u16_sdwa s[2:3], v126, v75 src0_sel:BYTE_0 src1_sel:BYTE_0
	v_cmp_ge_u16_sdwa s[4:5], v126, v30 src0_sel:BYTE_0 src1_sel:BYTE_0
	v_mul_f32_e32 v30, v92, v108
	v_cmp_ge_u16_sdwa s[6:7], v126, v21 src0_sel:BYTE_0 src1_sel:DWORD
	v_cndmask_b32_e64 v1, 0, v1, s[2:3]
	v_cndmask_b32_e64 v21, 0, v31, s[4:5]
	;; [unrolled: 1-line block ×4, first 2 shown]
	v_cvt_pkrtz_f16_f32 v20, v1, v21
	v_cvt_pkrtz_f16_f32 v21, v30, v31
	v_accvgpr_read_b32 v30, a118
	v_accvgpr_read_b32 v31, a119
	v_pk_mul_f32 v[44:45], v[30:31], v[118:119] op_sel_hi:[1,0]
	v_accvgpr_read_b32 v30, a76
	v_accvgpr_read_b32 v31, a77
	v_pk_mul_f32 v[42:43], v[30:31], v[118:119] op_sel_hi:[1,0]
	;; [unrolled: 3-line block ×7, first 2 shown]
	v_mul_f32_e32 v30, v92, v121
	v_cmp_ge_u16_sdwa s[0:1], v126, v78 src0_sel:BYTE_0 src1_sel:BYTE_0
	v_mul_f32_e32 v31, v92, v107
	v_cmp_ge_u16_sdwa s[2:3], v126, v78 src0_sel:BYTE_0 src1_sel:BYTE_3
	v_mul_f32_e32 v78, v92, v8
	v_cndmask_b32_e64 v8, 0, v50, s[18:19]
	v_cndmask_b32_e64 v50, 0, v30, s[0:1]
	;; [unrolled: 1-line block ×3, first 2 shown]
	scratch_load_dwordx2 v[30:31], off, s32 offset:1156 ; 8-byte Folded Reload
	s_waitcnt lgkmcnt(0)
	s_barrier
	scratch_load_dword v107, off, s32 offset:1112 ; 4-byte Folded Reload
	v_lshrrev_b32_e32 v1, 8, v79
	v_cmp_ge_u16_sdwa s[34:35], v126, v1 src0_sel:BYTE_0 src1_sel:BYTE_0
	v_cndmask_b32_e64 v1, 0, v9, s[22:23]
	v_cndmask_b32_e64 v9, 0, v51, s[8:9]
	;; [unrolled: 1-line block ×3, first 2 shown]
	v_lshrrev_b32_e32 v12, 8, v73
	v_cmp_ge_u16_sdwa s[16:17], v126, v12 src0_sel:BYTE_0 src1_sel:BYTE_0
	v_cmp_ge_u16_sdwa s[4:5], v126, v79 src0_sel:BYTE_0 src1_sel:BYTE_0
	v_cmp_ge_u16_sdwa s[6:7], v126, v79 src0_sel:BYTE_0 src1_sel:BYTE_3
	v_and_b32_sdwa v75, v79, s63 dst_sel:DWORD dst_unused:UNUSED_PAD src0_sel:WORD_1 src1_sel:DWORD
	v_cndmask_b32_e64 v56, 0, v78, s[20:21]
	v_cmp_ge_u16_sdwa s[0:1], v126, v75 src0_sel:BYTE_0 src1_sel:DWORD
	v_and_b32_sdwa v89, v73, s63 dst_sel:DWORD dst_unused:UNUSED_PAD src0_sel:WORD_1 src1_sel:DWORD
	v_and_b32_sdwa v75, v72, s63 dst_sel:DWORD dst_unused:UNUSED_PAD src0_sel:WORD_1 src1_sel:DWORD
	v_cndmask_b32_e64 v57, 0, v0, s[0:1]
	v_cmp_ge_u16_sdwa s[0:1], v126, v72 src0_sel:BYTE_0 src1_sel:BYTE_0
	v_cndmask_b32_e64 v66, 0, v66, s[4:5]
	v_cmp_ge_u16_sdwa s[4:5], v126, v73 src0_sel:BYTE_0 src1_sel:BYTE_0
	v_cndmask_b32_e64 v12, 0, v53, s[0:1]
	v_cmp_ge_u16_sdwa s[0:1], v126, v89 src0_sel:BYTE_0 src1_sel:DWORD
	v_cmp_ge_u16_sdwa s[8:9], v126, v24 src0_sel:BYTE_0 src1_sel:BYTE_0
	v_cmp_ge_u16_sdwa s[10:11], v126, v75 src0_sel:BYTE_0 src1_sel:DWORD
	v_lshrrev_b32_e32 v89, 8, v60
	v_cndmask_b32_e64 v13, 0, v25, s[8:9]
	v_cndmask_b32_e64 v25, 0, v54, s[10:11]
	;; [unrolled: 1-line block ×3, first 2 shown]
	v_and_b32_sdwa v88, v60, s63 dst_sel:DWORD dst_unused:UNUSED_PAD src0_sel:WORD_1 src1_sel:DWORD
	v_lshrrev_b32_e32 v75, 8, v62
	v_cndmask_b32_e64 v74, 0, v74, s[6:7]
	v_cmp_ge_u16_sdwa s[6:7], v126, v73 src0_sel:BYTE_0 src1_sel:BYTE_3
	v_and_b32_sdwa v73, v62, s63 dst_sel:DWORD dst_unused:UNUSED_PAD src0_sel:WORD_1 src1_sel:DWORD
	v_lshrrev_b32_e32 v24, 8, v63
	v_and_b32_sdwa v0, v63, s63 dst_sel:DWORD dst_unused:UNUSED_PAD src0_sel:WORD_1 src1_sel:DWORD
	v_cmp_ge_u16_sdwa s[2:3], v126, v72 src0_sel:BYTE_0 src1_sel:BYTE_3
	v_cndmask_b32_e64 v67, 0, v67, s[34:35]
	v_cndmask_b32_e64 v72, 0, v104, s[6:7]
	;; [unrolled: 1-line block ×3, first 2 shown]
	v_cvt_pkrtz_f16_f32 v25, v25, v53
	v_cvt_pkrtz_f16_f32 v8, v8, v56
	;; [unrolled: 1-line block ×4, first 2 shown]
	s_mov_b64 s[8:9], exec
	s_waitcnt vmcnt(1)
	v_pk_mul_f32 v[30:31], v[30:31], v[118:119] op_sel_hi:[1,0]
	v_mul_f32_e32 v119, v92, v58
	v_cndmask_b32_e64 v119, 0, v119, s[16:17]
	s_waitcnt vmcnt(0)
	ds_read_b128 a[16:19], v107
	ds_read_b128 v[120:123], v107 offset:1152
	s_waitcnt lgkmcnt(1)
	v_mfma_f32_32x32x8_f16 a[0:15], a[16:17], v[6:7], a[0:15]
	ds_read_b128 v[76:79], v107 offset:576
	v_mul_f32_e32 v58, v92, v59
	v_cndmask_b32_e64 v58, 0, v58, s[0:1]
	v_cmp_ge_u16_sdwa s[0:1], v126, v60 src0_sel:BYTE_0 src1_sel:BYTE_0
	v_mfma_f32_32x32x8_f16 a[0:15], a[18:19], v[20:21], a[0:15]
	v_accvgpr_write_b32 a16, v30
	v_accvgpr_write_b32 a17, v31
	;; [unrolled: 1-line block ×16, first 2 shown]
	v_accvgpr_read_b32 v30, a84
	v_accvgpr_read_b32 v31, a85
	v_pk_mul_f32 v[44:45], v[30:31], v[118:119] op_sel_hi:[1,0]
	v_accvgpr_read_b32 v30, a90
	v_accvgpr_read_b32 v31, a91
	v_pk_mul_f32 v[42:43], v[30:31], v[118:119] op_sel_hi:[1,0]
	v_accvgpr_read_b32 v30, a32
	v_mul_f32_e32 v55, v92, v30
	scratch_load_dwordx2 v[30:31], off, s32 offset:1284 ; 8-byte Folded Reload
	v_cndmask_b32_e64 v55, 0, v55, s[0:1]
	v_cmp_ge_u16_sdwa s[0:1], v126, v89 src0_sel:BYTE_0 src1_sel:BYTE_0
	s_waitcnt vmcnt(0)
	v_pk_mul_f32 v[40:41], v[30:31], v[118:119] op_sel_hi:[1,0]
	scratch_load_dwordx2 v[30:31], off, s32 offset:1276 ; 8-byte Folded Reload
	s_waitcnt vmcnt(0)
	v_pk_mul_f32 v[38:39], v[30:31], v[118:119] op_sel_hi:[1,0]
	scratch_load_dwordx2 v[30:31], off, s32 offset:1268 ; 8-byte Folded Reload
	;; [unrolled: 3-line block ×3, first 2 shown]
	s_waitcnt vmcnt(0)
	v_pk_mul_f32 v[34:35], v[30:31], v[118:119] op_sel_hi:[1,0]
	v_accvgpr_read_b32 v30, a66
	v_accvgpr_read_b32 v31, a67
	v_pk_mul_f32 v[32:33], v[30:31], v[118:119] op_sel_hi:[1,0]
	scratch_load_dwordx2 v[30:31], off, s32 offset:1148 ; 8-byte Folded Reload
	s_waitcnt vmcnt(0)
	v_pk_mul_f32 v[30:31], v[30:31], v[118:119] op_sel_hi:[1,0]
	s_nop 0
	v_accvgpr_write_b32 a47, v45
	v_accvgpr_write_b32 a46, v44
	v_accvgpr_write_b32 a45, v43
	v_accvgpr_write_b32 a44, v42
	v_accvgpr_write_b32 a43, v41
	v_accvgpr_write_b32 a42, v40
	v_accvgpr_write_b32 a41, v39
	v_accvgpr_write_b32 a40, v38
	v_accvgpr_write_b32 a39, v37
	v_accvgpr_write_b32 a38, v36
	v_accvgpr_write_b32 a37, v35
	v_accvgpr_write_b32 a36, v34
	v_accvgpr_write_b32 a35, v33
	v_accvgpr_write_b32 a34, v32
	v_accvgpr_write_b32 a33, v31
	v_accvgpr_write_b32 a32, v30
	scratch_load_dword v30, off, s32 offset:1120 ; 4-byte Folded Reload
	s_waitcnt vmcnt(0)
	ds_read_b128 a[64:67], v30
	s_waitcnt lgkmcnt(1)
	v_mfma_f32_32x32x8_f16 a[16:31], v[76:77], v[6:7], a[16:31]
	v_accvgpr_read_b32 v30, a48
	v_mul_f32_e32 v30, v92, v30
	v_lshrrev_b32_e32 v77, 8, v61
	v_and_b32_sdwa v76, v61, s63 dst_sel:DWORD dst_unused:UNUSED_PAD src0_sel:WORD_1 src1_sel:DWORD
	v_mfma_f32_32x32x8_f16 a[16:31], v[78:79], v[20:21], a[16:31]
	v_cndmask_b32_e64 v78, 0, v30, s[0:1]
	v_mul_f32_e32 v30, v92, v71
	v_cmp_ge_u16_sdwa s[0:1], v126, v88 src0_sel:BYTE_0 src1_sel:DWORD
	s_nop 1
	v_cndmask_b32_e64 v79, 0, v30, s[0:1]
	scratch_load_dwordx2 v[30:31], off, s32 offset:1252 ; 8-byte Folded Reload
	v_mfma_f32_32x32x8_f16 a[32:47], v[120:121], v[6:7], a[32:47]
	v_cmp_ge_u16_sdwa s[0:1], v126, v60 src0_sel:BYTE_0 src1_sel:BYTE_3
	s_waitcnt vmcnt(0)
	v_pk_mul_f32 v[44:45], v[30:31], v[118:119] op_sel_hi:[1,0]
	scratch_load_dwordx2 v[30:31], off, s32 offset:1244 ; 8-byte Folded Reload
	v_mfma_f32_32x32x8_f16 a[32:47], v[122:123], v[20:21], a[32:47]
	s_waitcnt vmcnt(0)
	v_pk_mul_f32 v[42:43], v[30:31], v[118:119] op_sel_hi:[1,0]
	scratch_load_dwordx2 v[30:31], off, s32 offset:1236 ; 8-byte Folded Reload
	s_waitcnt vmcnt(0)
	v_pk_mul_f32 v[40:41], v[30:31], v[118:119] op_sel_hi:[1,0]
	scratch_load_dwordx2 v[30:31], off, s32 offset:1228 ; 8-byte Folded Reload
	;; [unrolled: 3-line block ×6, first 2 shown]
	s_waitcnt vmcnt(0)
	v_pk_mul_f32 v[30:31], v[30:31], v[118:119] op_sel_hi:[1,0]
	s_nop 0
	v_accvgpr_write_b32 a63, v45
	v_accvgpr_write_b32 a62, v44
	;; [unrolled: 1-line block ×16, first 2 shown]
	scratch_load_dword v39, off, s32 offset:1116 ; 4-byte Folded Reload
	scratch_load_dword v45, off, s32 offset:1404 ; 4-byte Folded Reload
	s_waitcnt lgkmcnt(0)
	v_mfma_f32_32x32x8_f16 a[48:63], a[64:65], v[6:7], a[48:63]
	v_mul_f32_e32 v6, v92, v70
	v_cndmask_b32_e64 v7, 0, v6, s[0:1]
	v_mul_f32_e32 v6, v92, v69
	v_cmp_ge_u16_sdwa s[0:1], v126, v61 src0_sel:BYTE_0 src1_sel:BYTE_0
	v_cvt_pkrtz_f16_f32 v7, v79, v7
	s_waitcnt vmcnt(1)
	ds_read_b128 v[34:37], v39 offset:576
	v_cndmask_b32_e64 v38, 0, v6, s[0:1]
	scratch_load_dword v6, off, s32 offset:1108 ; 4-byte Folded Reload
	v_cmp_ge_u16_sdwa s[0:1], v126, v77 src0_sel:BYTE_0 src1_sel:BYTE_0
	v_mfma_f32_32x32x8_f16 a[48:63], a[66:67], v[20:21], a[48:63]
	s_waitcnt vmcnt(0)
	ds_read_b128 v[30:33], v6
	v_accvgpr_read_b32 v6, a89
	v_mul_f32_e32 v6, v92, v6
	v_cndmask_b32_e64 v20, 0, v6, s[0:1]
	v_accvgpr_read_b32 v6, a82
	v_mul_f32_e32 v21, v92, v6
	v_cvt_pkrtz_f16_f32 v6, v55, v78
	v_cmp_ge_u16_sdwa s[0:1], v126, v76 src0_sel:BYTE_0 src1_sel:DWORD
	v_cvt_pkrtz_f16_f32 v40, v38, v20
	s_waitcnt lgkmcnt(0)
	v_mfma_f32_32x32x8_f16 a[0:15], v[30:31], v[6:7], a[0:15]
	v_accvgpr_read_b32 v30, a75
	v_cndmask_b32_e64 v21, 0, v21, s[0:1]
	v_mul_f32_e32 v30, v92, v30
	v_cmp_ge_u16_sdwa s[0:1], v126, v61 src0_sel:BYTE_0 src1_sel:BYTE_3
	v_mul_f32_e32 v20, v92, v106
	s_nop 0
	v_cndmask_b32_e64 v30, 0, v30, s[0:1]
	v_mfma_f32_32x32x8_f16 a[16:31], v[34:35], v[6:7], a[16:31]
	v_cmp_ge_u16_sdwa s[0:1], v126, v62 src0_sel:BYTE_0 src1_sel:BYTE_0
	v_cvt_pkrtz_f16_f32 v41, v21, v30
	v_mul_f32_e32 v21, v92, v68
	v_cndmask_b32_e64 v20, 0, v20, s[0:1]
	v_cmp_ge_u16_sdwa s[0:1], v126, v75 src0_sel:BYTE_0 src1_sel:BYTE_0
	v_mul_f32_e32 v30, v92, v111
	v_cvt_pkrtz_f16_f32 v35, v58, v72
	v_cndmask_b32_e64 v21, 0, v21, s[0:1]
	v_cmp_ge_u16_sdwa s[0:1], v126, v73 src0_sel:BYTE_0 src1_sel:DWORD
	v_mfma_f32_32x32x8_f16 a[0:15], v[32:33], v[40:41], a[0:15]
	v_cvt_pkrtz_f16_f32 v20, v20, v21
	v_cndmask_b32_e64 v55, 0, v30, s[0:1]
	v_accvgpr_read_b32 v30, a83
	v_mul_f32_e32 v30, v92, v30
	v_cmp_ge_u16_sdwa s[0:1], v126, v62 src0_sel:BYTE_0 src1_sel:BYTE_3
	s_nop 1
	v_cndmask_b32_e64 v42, 0, v30, s[0:1]
	v_accvgpr_read_b32 v30, a74
	v_mul_f32_e32 v34, v92, v30
	ds_read_b128 v[30:33], v39 offset:1152
	v_mfma_f32_32x32x8_f16 a[16:31], v[36:37], v[40:41], a[16:31]
	ds_read_b128 v[36:39], v45
	v_cmp_ge_u16_sdwa s[0:1], v126, v63 src0_sel:BYTE_0 src1_sel:BYTE_0
	v_cvt_pkrtz_f16_f32 v21, v55, v42
	s_nop 0
	v_cndmask_b32_e64 v43, 0, v34, s[0:1]
	v_accvgpr_read_b32 v34, a126
	v_mul_f32_e32 v34, v92, v34
	s_waitcnt lgkmcnt(0)
	v_mfma_f32_32x32x8_f16 a[48:63], v[36:37], v[6:7], a[48:63]
	scratch_load_dword v36, off, s32 offset:1096 ; 4-byte Folded Reload
	scratch_load_dword v37, off, s32 offset:1384 ; 4-byte Folded Reload
	v_cmp_ge_u16_sdwa s[0:1], v126, v24 src0_sel:BYTE_0 src1_sel:BYTE_0
	v_accvgpr_read_b32 v24, a127
	v_mul_f32_e32 v24, v92, v24
	v_cndmask_b32_e64 v44, 0, v34, s[0:1]
	v_cmp_ge_u16_sdwa s[0:1], v126, v0 src0_sel:BYTE_0 src1_sel:DWORD
	v_mfma_f32_32x32x8_f16 a[48:63], v[38:39], v[40:41], a[48:63]
	scratch_load_dword v38, off, s32 offset:1380 ; 4-byte Folded Reload
	v_cndmask_b32_e64 v0, 0, v24, s[0:1]
	v_accvgpr_read_b32 v24, a68
	v_mul_f32_e32 v24, v92, v24
	v_cmp_ge_u16_sdwa s[0:1], v126, v63 src0_sel:BYTE_0 src1_sel:BYTE_3
	v_cvt_pkrtz_f16_f32 v34, v54, v119
	v_mfma_f32_32x32x8_f16 a[32:47], v[30:31], v[6:7], a[32:47]
	v_cndmask_b32_e64 v30, 0, v24, s[0:1]
	v_readfirstlane_b32 s0, v110
	v_cvt_pkrtz_f16_f32 v24, v12, v13
	v_cvt_pkrtz_f16_f32 v13, v0, v30
	v_perm_b32 v30, v14, v112, s59
	v_perm_b32 v14, v14, v112, s60
	;; [unrolled: 1-line block ×3, first 2 shown]
	v_mfma_f32_32x32x8_f16 a[32:47], v[32:33], v[40:41], a[32:47]
	v_perm_b32 v15, v15, v113, s60
	v_perm_b32 v32, v16, v114, s59
	;; [unrolled: 1-line block ×5, first 2 shown]
	v_cvt_pkrtz_f16_f32 v12, v43, v44
	v_cvt_pkrtz_f16_f32 v6, v50, v51
	;; [unrolled: 1-line block ×4, first 2 shown]
	s_waitcnt vmcnt(2)
	v_add_u32_e32 v36, s0, v36
	v_mul_lo_u32 v36, v36, s46
	s_waitcnt vmcnt(1)
	v_add_u32_e32 v37, v36, v37
	s_waitcnt vmcnt(0)
	v_add_lshl_u32 v37, v37, v38, 1
	v_add_u32_e32 v38, 0x2400, v37
	ds_write2_b32 v38, v30, v14 offset1:4
	ds_write2_b32 v38, v31, v15 offset0:8 offset1:12
	ds_write2_b32 v38, v32, v16 offset0:16 offset1:20
	;; [unrolled: 1-line block ×3, first 2 shown]
	v_accvgpr_read_b32 v14, a112
	v_accvgpr_read_b32 v15, a117
	v_add_u32_e32 v30, v14, v15
.LBB1_80:                               ;   Parent Loop BB1_45 Depth=1
                                        ; =>  This Inner Loop Header: Depth=2
	v_readfirstlane_b32 s4, v22
	v_readfirstlane_b32 s5, v23
	;; [unrolled: 1-line block ×4, first 2 shown]
	v_cmp_eq_u64_e64 s[0:1], s[4:5], v[22:23]
	s_nop 0
	v_cmp_eq_u64_e64 s[2:3], s[6:7], v[46:47]
	s_and_b64 s[0:1], s[0:1], s[2:3]
	s_and_saveexec_b64 s[0:1], s[0:1]
	buffer_load_dwordx4 v[14:17], v30, s[4:7], 0 offen
                                        ; implicit-def: $vgpr30
	s_xor_b64 exec, exec, s[0:1]
	s_cbranch_execnz .LBB1_80
; %bb.81:                               ;   in Loop: Header=BB1_45 Depth=1
	s_mov_b64 exec, s[8:9]
	v_accvgpr_read_b32 v30, a112
	v_accvgpr_read_b32 v31, a116
	v_add_u32_e32 v38, v30, v31
	s_mov_b64 s[8:9], exec
.LBB1_82:                               ;   Parent Loop BB1_45 Depth=1
                                        ; =>  This Inner Loop Header: Depth=2
	v_readfirstlane_b32 s4, v22
	v_readfirstlane_b32 s5, v23
	;; [unrolled: 1-line block ×4, first 2 shown]
	v_cmp_eq_u64_e64 s[0:1], s[4:5], v[22:23]
	s_nop 0
	v_cmp_eq_u64_e64 s[2:3], s[6:7], v[46:47]
	s_and_b64 s[0:1], s[0:1], s[2:3]
	s_and_saveexec_b64 s[0:1], s[0:1]
	buffer_load_dwordx4 v[30:33], v38, s[4:7], 0 offen
                                        ; implicit-def: $vgpr38
	s_xor_b64 exec, exec, s[0:1]
	s_cbranch_execnz .LBB1_82
; %bb.83:                               ;   in Loop: Header=BB1_45 Depth=1
	s_mov_b64 exec, s[8:9]
	s_waitcnt lgkmcnt(0)
	s_barrier
	scratch_load_dword v38, off, s32 offset:1408 ; 4-byte Folded Reload
	s_mov_b64 s[8:9], exec
	s_waitcnt vmcnt(0)
	ds_read_b128 v[48:51], v38
	ds_read_b128 v[64:67], v45 offset:9216
	s_waitcnt lgkmcnt(1)
	v_mfma_f32_32x32x8_f16 a[0:15], v[48:49], v[24:25], a[0:15]
	v_mfma_f32_32x32x8_f16 a[0:15], v[50:51], v[34:35], a[0:15]
	ds_read_b128 v[48:51], v38 offset:576
	ds_read_b128 v[112:115], v38 offset:1152
	scratch_load_dword v38, off, s32 offset:1124 ; 4-byte Folded Reload
	s_waitcnt lgkmcnt(1)
	v_mfma_f32_32x32x8_f16 a[16:31], v[48:49], v[24:25], a[16:31]
	v_mfma_f32_32x32x8_f16 a[16:31], v[50:51], v[34:35], a[16:31]
	s_waitcnt vmcnt(0)
	ds_read_b128 v[48:51], v38 offset:9216
	scratch_load_dword v38, off, s32 offset:1128 ; 4-byte Folded Reload
	s_waitcnt lgkmcnt(1)
	v_mfma_f32_32x32x8_f16 a[32:47], v[112:113], v[24:25], a[32:47]
	s_waitcnt lgkmcnt(0)
	v_mfma_f32_32x32x8_f16 a[48:63], v[48:49], v[24:25], a[48:63]
	scratch_load_dword v24, off, s32 offset:1412 ; 4-byte Folded Reload
	v_perm_b32 v25, v15, v31, s59
	v_perm_b32 v15, v15, v31, s60
	;; [unrolled: 1-line block ×4, first 2 shown]
	v_mfma_f32_32x32x8_f16 a[32:47], v[114:115], v[34:35], a[32:47]
	s_waitcnt vmcnt(1)
	ds_read_b128 v[112:115], v38 offset:9216
	v_mfma_f32_32x32x8_f16 a[48:63], v[50:51], v[34:35], a[48:63]
	s_waitcnt lgkmcnt(0)
	v_mfma_f32_32x32x8_f16 a[0:15], v[112:113], v[20:21], a[0:15]
	v_mfma_f32_32x32x8_f16 a[0:15], v[114:115], v[12:13], a[0:15]
	s_waitcnt vmcnt(0)
	ds_read_b128 v[48:51], v24 offset:576
	ds_read_b128 v[112:115], v24 offset:1152
	v_perm_b32 v24, v14, v30, s59
	v_perm_b32 v14, v14, v30, s60
	;; [unrolled: 1-line block ×4, first 2 shown]
	s_waitcnt lgkmcnt(1)
	v_mfma_f32_32x32x8_f16 a[16:31], v[48:49], v[20:21], a[16:31]
	s_waitcnt lgkmcnt(0)
	v_mfma_f32_32x32x8_f16 a[32:47], v[112:113], v[20:21], a[32:47]
	v_mfma_f32_32x32x8_f16 a[48:63], v[64:65], v[20:21], a[48:63]
	v_add_u32_e32 v20, 0x4800, v37
	ds_write2_b32 v20, v24, v14 offset1:4
	ds_write2_b32 v20, v25, v15 offset0:8 offset1:12
	ds_write2_b32 v20, v30, v16 offset0:16 offset1:20
	;; [unrolled: 1-line block ×3, first 2 shown]
	v_accvgpr_read_b32 v14, a112
	v_accvgpr_read_b32 v15, a113
	v_add_u32_e32 v20, v14, v15
	v_mfma_f32_32x32x8_f16 a[16:31], v[50:51], v[12:13], a[16:31]
	v_mfma_f32_32x32x8_f16 a[32:47], v[114:115], v[12:13], a[32:47]
	;; [unrolled: 1-line block ×3, first 2 shown]
.LBB1_84:                               ;   Parent Loop BB1_45 Depth=1
                                        ; =>  This Inner Loop Header: Depth=2
	v_readfirstlane_b32 s4, v22
	v_readfirstlane_b32 s5, v23
	;; [unrolled: 1-line block ×4, first 2 shown]
	v_cmp_eq_u64_e64 s[0:1], s[4:5], v[22:23]
	s_nop 0
	v_cmp_eq_u64_e64 s[2:3], s[6:7], v[46:47]
	s_and_b64 s[0:1], s[0:1], s[2:3]
	s_and_saveexec_b64 s[0:1], s[0:1]
	buffer_load_dwordx4 v[14:17], v20, s[4:7], 0 offen
                                        ; implicit-def: $vgpr20
	s_xor_b64 exec, exec, s[0:1]
	s_cbranch_execnz .LBB1_84
; %bb.85:                               ;   in Loop: Header=BB1_45 Depth=1
	s_mov_b64 exec, s[8:9]
	v_accvgpr_read_b32 v12, a112
	v_accvgpr_read_b32 v13, a115
	v_add_u32_e32 v12, v12, v13
	s_mov_b64 s[8:9], exec
.LBB1_86:                               ;   Parent Loop BB1_45 Depth=1
                                        ; =>  This Inner Loop Header: Depth=2
	v_readfirstlane_b32 s4, v22
	v_readfirstlane_b32 s5, v23
	;; [unrolled: 1-line block ×4, first 2 shown]
	v_cmp_eq_u64_e64 s[0:1], s[4:5], v[22:23]
	s_nop 0
	v_cmp_eq_u64_e64 s[2:3], s[6:7], v[46:47]
	s_and_b64 s[0:1], s[0:1], s[2:3]
	s_and_saveexec_b64 s[0:1], s[0:1]
	buffer_load_dwordx4 v[30:33], v12, s[4:7], 0 offen
                                        ; implicit-def: $vgpr12
	s_xor_b64 exec, exec, s[0:1]
	s_cbranch_execnz .LBB1_86
; %bb.87:                               ;   in Loop: Header=BB1_45 Depth=1
	s_mov_b64 exec, s[8:9]
	s_waitcnt lgkmcnt(0)
	s_barrier
	scratch_load_dword v13, off, s32 offset:1416 ; 4-byte Folded Reload
	scratch_load_dword v12, off, s32 offset:1128 ; 4-byte Folded Reload
	s_waitcnt vmcnt(1)
	ds_read_b128 v[48:51], v13
	s_waitcnt vmcnt(0)
	ds_read_b128 v[64:67], v12 offset:18432
	s_waitcnt lgkmcnt(1)
	v_mfma_f32_32x32x8_f16 a[0:15], v[48:49], v[8:9], a[0:15]
	v_mfma_f32_32x32x8_f16 a[0:15], v[50:51], v[10:11], a[0:15]
	ds_read_b128 v[48:51], v13 offset:576
	ds_read_b128 v[112:115], v13 offset:1152
	scratch_load_dword v12, off, s32 offset:1124 ; 4-byte Folded Reload
	v_perm_b32 v13, v16, v32, s60
	s_waitcnt lgkmcnt(1)
	v_mfma_f32_32x32x8_f16 a[16:31], v[48:49], v[8:9], a[16:31]
	s_waitcnt lgkmcnt(0)
	v_mfma_f32_32x32x8_f16 a[32:47], v[112:113], v[8:9], a[32:47]
	v_mfma_f32_32x32x8_f16 a[16:31], v[50:51], v[10:11], a[16:31]
	v_mfma_f32_32x32x8_f16 a[32:47], v[114:115], v[10:11], a[32:47]
	s_waitcnt vmcnt(0)
	ds_read_b128 v[48:51], v12 offset:18432
	ds_read_b128 v[112:115], v45 offset:18432
	scratch_load_dword v12, off, s32 offset:1420 ; 4-byte Folded Reload
	s_waitcnt lgkmcnt(1)
	v_mfma_f32_32x32x8_f16 a[48:63], v[48:49], v[8:9], a[48:63]
	v_mfma_f32_32x32x8_f16 a[48:63], v[50:51], v[10:11], a[48:63]
	s_waitcnt vmcnt(0)
	ds_read_b128 v[8:11], v12 offset:576
	ds_read_b128 v[48:51], v12 offset:1152
	s_waitcnt lgkmcnt(1)
	v_mfma_f32_32x32x8_f16 a[16:31], v[8:9], v[6:7], a[16:31]
	v_perm_b32 v8, v14, v30, s59
	v_perm_b32 v9, v14, v30, s60
	scratch_load_dword v14, off, s32 offset:1104 ; 4-byte Folded Reload
	v_perm_b32 v12, v16, v32, s59
	s_waitcnt vmcnt(0)
	v_add_lshl_u32 v14, v36, v14, 1
	v_mfma_f32_32x32x8_f16 a[0:15], v[64:65], v[6:7], a[0:15]
	v_mfma_f32_32x32x8_f16 a[16:31], v[10:11], v[0:1], a[16:31]
	v_perm_b32 v10, v15, v31, s59
	v_perm_b32 v11, v15, v31, s60
	s_waitcnt lgkmcnt(0)
	v_mfma_f32_32x32x8_f16 a[32:47], v[48:49], v[6:7], a[32:47]
	v_mfma_f32_32x32x8_f16 a[48:63], v[112:113], v[6:7], a[48:63]
	v_perm_b32 v6, v17, v33, s59
	v_perm_b32 v7, v17, v33, s60
	ds_write2_b32 v14, v8, v9 offset1:4
	ds_write2_b32 v14, v10, v11 offset0:8 offset1:12
	ds_write2_b32 v14, v12, v13 offset0:16 offset1:20
	;; [unrolled: 1-line block ×3, first 2 shown]
	scratch_load_dword v6, off, s32 offset:1424 ; 4-byte Folded Reload
	s_waitcnt vmcnt(0)
	v_cmp_lt_i32_e64 s[0:1], s43, v6
	v_mfma_f32_32x32x8_f16 a[0:15], v[66:67], v[0:1], a[0:15]
	v_mfma_f32_32x32x8_f16 a[32:47], v[50:51], v[0:1], a[32:47]
	;; [unrolled: 1-line block ×3, first 2 shown]
	s_and_saveexec_b64 s[2:3], s[0:1]
	s_cbranch_execz .LBB1_44
; %bb.88:                               ;   in Loop: Header=BB1_45 Depth=1
	scratch_load_dword v0, off, s32 offset:1072 ; 4-byte Folded Reload
	s_waitcnt vmcnt(0)
	v_readfirstlane_b32 s0, v0
	scratch_load_dword v0, off, s32 offset:1460 ; 4-byte Folded Reload
	scratch_load_dword v8, off, s32 offset:1300 ; 4-byte Folded Reload
	;; [unrolled: 1-line block ×3, first 2 shown]
	scratch_load_dwordx2 v[6:7], off, s32 offset:1496 ; 8-byte Folded Reload
	s_waitcnt vmcnt(2)
	v_add3_u32 v0, v8, v0, s0
	s_waitcnt vmcnt(0)
	v_mad_u64_u32 v[0:1], s[0:1], v0, v1, v[6:7]
	scratch_load_dword v1, off, s32 offset:1296 ; 4-byte Folded Reload
	v_mov_b32_e32 v6, v0
	v_lshlrev_b32_e32 v0, 1, v0
	s_waitcnt vmcnt(0)
	v_readfirstlane_b32 s0, v1
	;;#ASMSTART
	s_mov_b32 m0, s0
	;;#ASMEND
	scratch_store_dwordx2 off, v[6:7], s32 offset:1084 ; 8-byte Folded Spill
	;;#ASMSTART
	buffer_load_dword v0, v[2:5], 0 offen offset:0 lds
	;;#ASMEND
	;;#ASMSTART
	s_add_u32 m0, 0x440, m0
	;;#ASMEND
	v_add_u32_e32 v0, v0, v90
	;;#ASMSTART
	buffer_load_dword v0, v[2:5], 0 offen offset:0 lds
	;;#ASMEND
	;;#ASMSTART
	s_add_u32 m0, 0x440, m0
	;;#ASMEND
	v_add_u32_e32 v0, v0, v90
	;; [unrolled: 7-line block ×7, first 2 shown]
	;;#ASMSTART
	buffer_load_dword v0, v[2:5], 0 offen offset:0 lds
	;;#ASMEND
	scratch_store_dword off, v8, s32 offset:1136 ; 4-byte Folded Spill
	s_branch .LBB1_44
.LBB1_89:
	s_or_b64 exec, exec, s[40:41]
	v_log_f32_e32 v4, v48
	s_mov_b32 s0, 0x3f317217
	v_cvt_f64_f32_e32 v[2:3], v52
	v_accvgpr_read_b32 v45, a15
	v_mul_f32_e32 v5, 0x3f317217, v4
	v_fma_f32 v5, v4, s0, -v5
	v_fmamk_f32 v5, v4, 0x3377d1cf, v5
	s_mov_b32 s0, 0x7f800000
	v_fmac_f32_e32 v5, 0x3f317217, v4
	v_cmp_lt_f32_e64 vcc, |v4|, s0
	s_mov_b32 s0, 0x3f1ff27
	s_mov_b32 s1, 0x3fe62e43
	v_cndmask_b32_e32 v4, v4, v5, vcc
	v_cvt_f64_f32_e32 v[4:5], v4
	v_fmac_f64_e32 v[4:5], s[0:1], v[2:3]
	scratch_load_dword v3, off, s32 offset:1072 ; 4-byte Folded Reload
	v_accvgpr_read_b32 v37, a7
	v_accvgpr_read_b32 v36, a6
	;; [unrolled: 1-line block ×4, first 2 shown]
	scratch_load_dwordx4 v[34:37], off, s32 offset:1524 ; 16-byte Folded Reload
	v_cvt_f32_f64_e32 v2, v[4:5]
	v_accvgpr_read_b32 v5, a71
	v_accvgpr_read_b32 v33, a3
	;; [unrolled: 1-line block ×5, first 2 shown]
	s_waitcnt vmcnt(0)
	v_lshlrev_b32_e32 v36, 2, v5
	v_mov_b32_e32 v37, 0x20000
	s_mov_b64 s[2:3], exec
	v_accvgpr_read_b32 v44, a14
	v_accvgpr_read_b32 v43, a13
	;; [unrolled: 1-line block ×7, first 2 shown]
	v_readfirstlane_b32 s0, v3
	scratch_load_dword v3, off, s32 offset:1080 ; 4-byte Folded Reload
	s_waitcnt vmcnt(0)
	v_lshl_add_u32 v3, s0, 5, v3
	v_cmp_le_i32_e32 vcc, v5, v3
	v_lshlrev_b32_e32 v4, 2, v3
	s_nop 0
	v_cndmask_b32_e64 v3, 0, 1, vcc
	v_lshl_add_u32 v3, v3, 31, v4
.LBB1_90:                               ; =>This Inner Loop Header: Depth=1
	v_readfirstlane_b32 s4, v34
	v_readfirstlane_b32 s5, v35
	;; [unrolled: 1-line block ×4, first 2 shown]
	v_cmp_eq_u64_e32 vcc, s[4:5], v[34:35]
	s_nop 0
	v_cmp_eq_u64_e64 s[0:1], s[6:7], v[36:37]
	s_and_b64 s[0:1], vcc, s[0:1]
	s_and_saveexec_b64 s[0:1], s[0:1]
	buffer_store_dword v2, v3, s[4:7], 0 offen
                                        ; implicit-def: $vgpr34_vgpr35_vgpr36_vgpr37
                                        ; implicit-def: $vgpr2
                                        ; implicit-def: $vgpr3
	s_xor_b64 exec, exec, s[0:1]
	s_cbranch_execnz .LBB1_90
; %bb.91:
	s_mov_b64 exec, s[2:3]
	v_div_scale_f32 v2, s[0:1], v48, v48, 1.0
	v_rcp_f32_e32 v3, v2
	v_div_scale_f32 v4, vcc, 1.0, v48, 1.0
	s_setreg_imm32_b32 hwreg(HW_REG_MODE, 4, 2), 3
	v_fma_f32 v5, -v2, v3, 1.0
	v_fmac_f32_e32 v3, v5, v3
	v_mul_f32_e32 v5, v4, v3
	v_fma_f32 v22, -v2, v5, v4
	v_fmac_f32_e32 v5, v22, v3
	v_fma_f32 v2, -v2, v5, v4
	s_setreg_imm32_b32 hwreg(HW_REG_MODE, 4, 2), 0
	v_div_fmas_f32 v2, v2, v3, v5
	v_div_fixup_f32 v2, v2, v48, 1.0
	v_cmp_neq_f32_e32 vcc, 0, v48
	v_mov_b32_e32 v4, v31
	v_mov_b32_e32 v5, v32
	v_cndmask_b32_e32 v2, 0, v2, vcc
	v_mov_b32_e32 v31, v33
	v_pk_mul_f32 v[92:93], v[2:3], v[4:5] op_sel_hi:[0,1]
	v_pk_mul_f32 v[94:95], v[2:3], v[30:31] op_sel_hi:[0,1]
	;; [unrolled: 1-line block ×32, first 2 shown]
                                        ; implicit-def: $vgpr0
                                        ; implicit-def: $vgpr16
                                        ; implicit-def: $vgpr52
                                        ; implicit-def: $vgpr2_vgpr3
	scratch_store_dwordx4 off, v[2:5], s32 offset:1524 ; 16-byte Folded Spill
.LBB1_92:
	s_or_saveexec_b64 s[2:3], s[36:37]
	scratch_load_dwordx2 v[48:49], off, s32 offset:1516 ; 8-byte Folded Reload
	scratch_load_dword v5, off, s32 offset:1072 ; 4-byte Folded Reload
	scratch_load_dword v17, off, s32 offset:1568 ; 4-byte Folded Reload
	s_xor_b64 exec, exec, s[2:3]
	s_cbranch_execz .LBB1_96
; %bb.93:
	;;#ASMSTART
	s_waitcnt vmcnt(0)
	;;#ASMEND
	scratch_load_dword v2, off, s32 offset:1080 ; 4-byte Folded Reload
	scratch_load_dwordx4 v[6:9], off, s32 offset:1524 ; 16-byte Folded Reload
	s_waitcnt vmcnt(3)
	v_readfirstlane_b32 s0, v5
	v_accvgpr_read_b32 v4, a71
	v_mul_f32_e32 v1, v16, v52
	s_waitcnt vmcnt(0)
	v_lshlrev_b32_e32 v8, 2, v4
	v_mov_b32_e32 v9, 0x20000
	s_mov_b64 s[8:9], exec
	v_lshl_add_u32 v2, s0, 5, v2
	v_cmp_le_i32_e32 vcc, v4, v2
	v_lshlrev_b32_e32 v3, 2, v2
	s_nop 0
	v_cndmask_b32_e64 v2, 0, 1, vcc
	v_lshl_add_u32 v2, v2, 31, v3
.LBB1_94:                               ; =>This Inner Loop Header: Depth=1
	v_readfirstlane_b32 s4, v6
	v_readfirstlane_b32 s5, v7
	;; [unrolled: 1-line block ×4, first 2 shown]
	v_cmp_eq_u64_e32 vcc, s[4:5], v[6:7]
	s_nop 0
	v_cmp_eq_u64_e64 s[0:1], s[6:7], v[8:9]
	s_and_b64 s[0:1], vcc, s[0:1]
	s_and_saveexec_b64 s[0:1], s[0:1]
	buffer_store_dword v1, v2, s[4:7], 0 offen
                                        ; implicit-def: $vgpr6_vgpr7_vgpr8_vgpr9
                                        ; implicit-def: $vgpr1
                                        ; implicit-def: $vgpr2
	s_xor_b64 exec, exec, s[0:1]
	s_cbranch_execnz .LBB1_94
; %bb.95:
	s_mov_b64 exec, s[8:9]
	v_lshrrev_b32_e32 v17, 3, v0
	v_mov_b32_e32 v92, 0
	v_mov_b32_e32 v93, 0
	;; [unrolled: 1-line block ×64, first 2 shown]
.LBB1_96:
	s_or_b64 exec, exec, s[2:3]
	scratch_load_dword v0, off, s32 offset:1552 ; 4-byte Folded Reload
	scratch_load_dwordx2 v[2:3], off, s32 offset:1556 ; 8-byte Folded Reload
	s_waitcnt vmcnt(1)
	v_mad_i64_i32 v[0:1], s[0:1], v0, s12, 0
	s_waitcnt vmcnt(0)
	v_lshl_add_u64 v[0:1], v[0:1], 1, v[2:3]
	scratch_load_dword v2, off, s32 offset:1564 ; 4-byte Folded Reload
	s_waitcnt vmcnt(0)
	v_mad_i64_i32 v[2:3], s[0:1], v2, s14, 0
	v_lshl_add_u64 v[0:1], v[2:3], 1, v[0:1]
	scratch_load_dword v4, off, s32 offset:1548 ; 4-byte Folded Reload
	scratch_load_dword v2, off, s32 offset:1512 ; 4-byte Folded Reload
	scratch_load_dwordx2 v[14:15], off, s32 offset:1540 ; 8-byte Folded Reload
	v_readfirstlane_b32 s0, v5
	scratch_load_dword v5, off, s32 offset:1080 ; 4-byte Folded Reload
	s_waitcnt vmcnt(2)
	v_mul_lo_u32 v2, v4, v2
	v_ashrrev_i32_e32 v3, 31, v2
	s_waitcnt vmcnt(1)
	v_lshl_add_u64 v[2:3], v[2:3], 0, v[14:15]
	v_and_b32_e32 v3, 0x1ffffffc, v17
	s_waitcnt vmcnt(0)
	v_lshl_add_u32 v15, s0, 5, v5
	v_add_u32_e32 v14, s42, v3
	v_mad_u64_u32 v[4:5], s[0:1], v15, v4, v[14:15]
	v_accvgpr_read_b32 v3, a71
	v_cmp_gt_i32_e64 s[0:1], v49, v14
	v_cmp_gt_i32_e32 vcc, v3, v15
	s_and_b64 s[0:1], s[0:1], vcc
	v_lshlrev_b32_e32 v15, 1, v4
	v_lshlrev_b32_e32 v19, 1, v2
	v_bfe_u32 v23, v2, 7, 24
	v_lshrrev_b32_e32 v18, 15, v2
	v_bfe_u32 v22, v2, 23, 8
	s_and_saveexec_b64 s[8:9], s[0:1]
	s_cbranch_execz .LBB1_100
; %bb.97:
	v_cvt_f16_f32_e32 v2, v94
	v_cvt_f16_f32_e32 v3, v92
	;; [unrolled: 1-line block ×4, first 2 shown]
	s_mov_b32 s0, 0x5040100
	v_pack_b32_f16 v16, v2, v3
	v_lshlrev_b16_e32 v2, 8, v23
	v_and_b32_e32 v3, 0xfe, v19
	v_or_b32_e32 v2, v3, v2
	v_lshlrev_b16_e32 v3, 8, v22
	v_or_b32_sdwa v3, v18, v3 dst_sel:WORD_1 dst_unused:UNUSED_PAD src0_sel:BYTE_0 src1_sel:DWORD
	v_perm_b32 v17, v4, v5, s0
	v_or_b32_sdwa v4, v2, v3 dst_sel:DWORD dst_unused:UNUSED_PAD src0_sel:WORD_0 src1_sel:DWORD
	v_mov_b32_e32 v5, 0x20000
	s_mov_b64 s[10:11], exec
.LBB1_98:                               ; =>This Inner Loop Header: Depth=1
	v_readfirstlane_b32 s4, v0
	v_readfirstlane_b32 s5, v1
	;; [unrolled: 1-line block ×4, first 2 shown]
	v_cmp_eq_u64_e64 s[0:1], s[4:5], v[0:1]
	s_nop 0
	v_cmp_eq_u64_e64 s[2:3], s[6:7], v[4:5]
	s_and_b64 s[0:1], s[0:1], s[2:3]
	s_and_saveexec_b64 s[0:1], s[0:1]
	buffer_store_dwordx2 v[16:17], v15, s[4:7], 0 offen
                                        ; implicit-def: $vgpr16_vgpr17
                                        ; implicit-def: $vgpr2_vgpr3_vgpr4_vgpr5
	s_xor_b64 exec, exec, s[0:1]
	s_cbranch_execnz .LBB1_98
; %bb.99:
	s_mov_b64 exec, s[10:11]
.LBB1_100:
	s_or_b64 exec, exec, s[8:9]
	v_add_u32_e32 v2, 8, v14
	v_cmp_gt_i32_e64 s[0:1], v49, v2
	s_and_b64 s[0:1], s[0:1], vcc
	s_and_saveexec_b64 s[8:9], s[0:1]
	s_cbranch_execz .LBB1_104
; %bb.101:
	v_cvt_f16_f32_e32 v2, v38
	v_cvt_f16_f32_e32 v3, v90
	v_cvt_f16_f32_e32 v4, v91
	v_cvt_f16_f32_e32 v5, v39
	s_mov_b64 s[10:11], exec
	v_pack_b32_f16 v17, v3, v4
	v_pack_b32_f16 v16, v2, v5
	v_lshlrev_b16_e32 v2, 8, v23
	v_and_b32_e32 v3, 0xfe, v19
	v_or_b32_e32 v2, v3, v2
	v_lshlrev_b16_e32 v3, 8, v22
	v_or_b32_sdwa v3, v18, v3 dst_sel:WORD_1 dst_unused:UNUSED_PAD src0_sel:BYTE_0 src1_sel:DWORD
	v_mov_b32_e32 v5, 0x20000
	v_or_b32_sdwa v4, v2, v3 dst_sel:DWORD dst_unused:UNUSED_PAD src0_sel:WORD_0 src1_sel:DWORD
.LBB1_102:                              ; =>This Inner Loop Header: Depth=1
	v_readfirstlane_b32 s4, v0
	v_readfirstlane_b32 s5, v1
	v_readfirstlane_b32 s6, v4
	v_readfirstlane_b32 s7, v5
	v_cmp_eq_u64_e64 s[0:1], s[4:5], v[0:1]
	s_nop 0
	v_cmp_eq_u64_e64 s[2:3], s[6:7], v[4:5]
	s_and_b64 s[0:1], s[0:1], s[2:3]
	s_and_saveexec_b64 s[0:1], s[0:1]
	buffer_store_dwordx2 v[16:17], v15, s[4:7], 0 offen offset:16
                                        ; implicit-def: $vgpr16_vgpr17
                                        ; implicit-def: $vgpr2_vgpr3_vgpr4_vgpr5
	s_xor_b64 exec, exec, s[0:1]
	s_cbranch_execnz .LBB1_102
; %bb.103:
	s_mov_b64 exec, s[10:11]
.LBB1_104:
	s_or_b64 exec, exec, s[8:9]
	v_add_u32_e32 v2, 16, v14
	v_cmp_gt_i32_e64 s[0:1], v49, v2
	s_and_b64 s[0:1], s[0:1], vcc
	s_and_saveexec_b64 s[8:9], s[0:1]
	s_cbranch_execz .LBB1_108
; %bb.105:
	v_cvt_f16_f32_e32 v2, v34
	v_cvt_f16_f32_e32 v3, v36
	v_cvt_f16_f32_e32 v4, v37
	v_cvt_f16_f32_e32 v5, v35
	s_mov_b64 s[10:11], exec
	v_pack_b32_f16 v17, v3, v4
	v_pack_b32_f16 v16, v2, v5
	v_lshlrev_b16_e32 v2, 8, v23
	v_and_b32_e32 v3, 0xfe, v19
	v_or_b32_e32 v2, v3, v2
	v_lshlrev_b16_e32 v3, 8, v22
	v_or_b32_sdwa v3, v18, v3 dst_sel:WORD_1 dst_unused:UNUSED_PAD src0_sel:BYTE_0 src1_sel:DWORD
	v_mov_b32_e32 v5, 0x20000
	v_or_b32_sdwa v4, v2, v3 dst_sel:DWORD dst_unused:UNUSED_PAD src0_sel:WORD_0 src1_sel:DWORD
.LBB1_106:                              ; =>This Inner Loop Header: Depth=1
	v_readfirstlane_b32 s4, v0
	v_readfirstlane_b32 s5, v1
	v_readfirstlane_b32 s6, v4
	v_readfirstlane_b32 s7, v5
	v_cmp_eq_u64_e64 s[0:1], s[4:5], v[0:1]
	s_nop 0
	v_cmp_eq_u64_e64 s[2:3], s[6:7], v[4:5]
	s_and_b64 s[0:1], s[0:1], s[2:3]
	s_and_saveexec_b64 s[0:1], s[0:1]
	buffer_store_dwordx2 v[16:17], v15, s[4:7], 0 offen offset:32
                                        ; implicit-def: $vgpr16_vgpr17
                                        ; implicit-def: $vgpr2_vgpr3_vgpr4_vgpr5
	s_xor_b64 exec, exec, s[0:1]
	s_cbranch_execnz .LBB1_106
; %bb.107:
	s_mov_b64 exec, s[10:11]
.LBB1_108:
	;; [unrolled: 39-line block ×3, first 2 shown]
	s_or_b64 exec, exec, s[8:9]
	v_add_u32_e32 v2, 32, v14
	v_cmp_gt_i32_e64 s[0:1], v49, v2
	s_and_b64 s[0:1], s[0:1], vcc
	s_and_saveexec_b64 s[8:9], s[0:1]
	s_cbranch_execz .LBB1_116
; %bb.113:
	v_cvt_f16_f32_e32 v2, v12
	v_cvt_f16_f32_e32 v3, v26
	;; [unrolled: 1-line block ×4, first 2 shown]
	s_mov_b64 s[10:11], exec
	v_pack_b32_f16 v13, v3, v4
	v_pack_b32_f16 v12, v2, v5
	v_lshlrev_b16_e32 v2, 8, v23
	v_and_b32_e32 v3, 0xfe, v19
	v_or_b32_e32 v2, v3, v2
	v_lshlrev_b16_e32 v3, 8, v22
	v_or_b32_sdwa v3, v18, v3 dst_sel:WORD_1 dst_unused:UNUSED_PAD src0_sel:BYTE_0 src1_sel:DWORD
	v_mov_b32_e32 v5, 0x20000
	v_or_b32_sdwa v4, v2, v3 dst_sel:DWORD dst_unused:UNUSED_PAD src0_sel:WORD_0 src1_sel:DWORD
.LBB1_114:                              ; =>This Inner Loop Header: Depth=1
	v_readfirstlane_b32 s4, v0
	v_readfirstlane_b32 s5, v1
	v_readfirstlane_b32 s6, v4
	v_readfirstlane_b32 s7, v5
	v_cmp_eq_u64_e64 s[0:1], s[4:5], v[0:1]
	s_nop 0
	v_cmp_eq_u64_e64 s[2:3], s[6:7], v[4:5]
	s_and_b64 s[0:1], s[0:1], s[2:3]
	s_and_saveexec_b64 s[0:1], s[0:1]
	buffer_store_dwordx2 v[12:13], v15, s[4:7], 0 offen offset:64
                                        ; implicit-def: $vgpr12_vgpr13
                                        ; implicit-def: $vgpr2_vgpr3_vgpr4_vgpr5
	s_xor_b64 exec, exec, s[0:1]
	s_cbranch_execnz .LBB1_114
; %bb.115:
	s_mov_b64 exec, s[10:11]
.LBB1_116:
	s_or_b64 exec, exec, s[8:9]
	v_add_u32_e32 v2, 40, v14
	v_cmp_gt_i32_e64 s[0:1], v49, v2
	s_and_b64 s[0:1], s[0:1], vcc
	s_and_saveexec_b64 s[8:9], s[0:1]
	s_cbranch_execz .LBB1_120
; %bb.117:
	v_cvt_f16_f32_e32 v2, v56
	v_cvt_f16_f32_e32 v3, v6
	v_cvt_f16_f32_e32 v4, v7
	v_cvt_f16_f32_e32 v5, v57
	s_mov_b64 s[10:11], exec
	v_pack_b32_f16 v7, v3, v4
	v_pack_b32_f16 v6, v2, v5
	v_lshlrev_b16_e32 v2, 8, v23
	v_and_b32_e32 v3, 0xfe, v19
	v_or_b32_e32 v2, v3, v2
	v_lshlrev_b16_e32 v3, 8, v22
	v_or_b32_sdwa v3, v18, v3 dst_sel:WORD_1 dst_unused:UNUSED_PAD src0_sel:BYTE_0 src1_sel:DWORD
	v_mov_b32_e32 v5, 0x20000
	v_or_b32_sdwa v4, v2, v3 dst_sel:DWORD dst_unused:UNUSED_PAD src0_sel:WORD_0 src1_sel:DWORD
.LBB1_118:                              ; =>This Inner Loop Header: Depth=1
	v_readfirstlane_b32 s4, v0
	v_readfirstlane_b32 s5, v1
	v_readfirstlane_b32 s6, v4
	v_readfirstlane_b32 s7, v5
	v_cmp_eq_u64_e64 s[0:1], s[4:5], v[0:1]
	s_nop 0
	v_cmp_eq_u64_e64 s[2:3], s[6:7], v[4:5]
	s_and_b64 s[0:1], s[0:1], s[2:3]
	s_and_saveexec_b64 s[0:1], s[0:1]
	buffer_store_dwordx2 v[6:7], v15, s[4:7], 0 offen offset:80
                                        ; implicit-def: $vgpr6_vgpr7
                                        ; implicit-def: $vgpr2_vgpr3_vgpr4_vgpr5
	s_xor_b64 exec, exec, s[0:1]
	s_cbranch_execnz .LBB1_118
; %bb.119:
	s_mov_b64 exec, s[10:11]
.LBB1_120:
	s_or_b64 exec, exec, s[8:9]
	v_add_u32_e32 v2, 48, v14
	v_cmp_gt_i32_e64 s[0:1], v49, v2
	s_and_b64 s[0:1], s[0:1], vcc
	s_and_saveexec_b64 s[8:9], s[0:1]
	s_cbranch_execz .LBB1_124
; %bb.121:
	v_cvt_f16_f32_e32 v2, v44
	v_cvt_f16_f32_e32 v3, v46
	v_cvt_f16_f32_e32 v4, v47
	v_cvt_f16_f32_e32 v5, v45
	s_mov_b64 s[10:11], exec
	v_pack_b32_f16 v7, v3, v4
	v_pack_b32_f16 v6, v2, v5
	v_lshlrev_b16_e32 v2, 8, v23
	v_and_b32_e32 v3, 0xfe, v19
	v_or_b32_e32 v2, v3, v2
	v_lshlrev_b16_e32 v3, 8, v22
	v_or_b32_sdwa v3, v18, v3 dst_sel:WORD_1 dst_unused:UNUSED_PAD src0_sel:BYTE_0 src1_sel:DWORD
	v_mov_b32_e32 v5, 0x20000
	v_or_b32_sdwa v4, v2, v3 dst_sel:DWORD dst_unused:UNUSED_PAD src0_sel:WORD_0 src1_sel:DWORD
.LBB1_122:                              ; =>This Inner Loop Header: Depth=1
	v_readfirstlane_b32 s4, v0
	v_readfirstlane_b32 s5, v1
	v_readfirstlane_b32 s6, v4
	v_readfirstlane_b32 s7, v5
	v_cmp_eq_u64_e64 s[0:1], s[4:5], v[0:1]
	s_nop 0
	v_cmp_eq_u64_e64 s[2:3], s[6:7], v[4:5]
	s_and_b64 s[0:1], s[0:1], s[2:3]
	s_and_saveexec_b64 s[0:1], s[0:1]
	buffer_store_dwordx2 v[6:7], v15, s[4:7], 0 offen offset:96
                                        ; implicit-def: $vgpr6_vgpr7
                                        ; implicit-def: $vgpr2_vgpr3_vgpr4_vgpr5
	s_xor_b64 exec, exec, s[0:1]
	s_cbranch_execnz .LBB1_122
; %bb.123:
	s_mov_b64 exec, s[10:11]
.LBB1_124:
	;; [unrolled: 39-line block ×10, first 2 shown]
	s_or_b64 exec, exec, s[8:9]
	v_add_u32_e32 v2, 0x78, v14
	v_cmp_gt_i32_e64 s[0:1], v49, v2
	s_and_b64 s[0:1], s[0:1], vcc
	s_and_saveexec_b64 s[2:3], s[0:1]
	s_cbranch_execz .LBB1_160
; %bb.157:
	v_cvt_f16_f32_e32 v2, v58
	v_cvt_f16_f32_e32 v3, v8
	;; [unrolled: 1-line block ×4, first 2 shown]
	s_mov_b64 s[8:9], exec
	v_pack_b32_f16 v5, v3, v4
	v_pack_b32_f16 v4, v2, v6
	v_lshlrev_b16_e32 v2, 8, v23
	v_and_b32_e32 v3, 0xfe, v19
	v_or_b32_e32 v2, v3, v2
	v_lshlrev_b16_e32 v3, 8, v22
	v_or_b32_sdwa v3, v18, v3 dst_sel:WORD_1 dst_unused:UNUSED_PAD src0_sel:BYTE_0 src1_sel:DWORD
	s_nop 0
	v_or_b32_sdwa v2, v2, v3 dst_sel:DWORD dst_unused:UNUSED_PAD src0_sel:WORD_0 src1_sel:DWORD
	v_mov_b32_e32 v3, 0x20000
.LBB1_158:                              ; =>This Inner Loop Header: Depth=1
	v_readfirstlane_b32 s4, v0
	v_readfirstlane_b32 s5, v1
	;; [unrolled: 1-line block ×4, first 2 shown]
	v_cmp_eq_u64_e32 vcc, s[4:5], v[0:1]
	s_nop 0
	v_cmp_eq_u64_e64 s[0:1], s[6:7], v[2:3]
	s_and_b64 s[0:1], vcc, s[0:1]
	s_and_saveexec_b64 s[0:1], s[0:1]
	buffer_store_dwordx2 v[4:5], v15, s[4:7], 0 offen offset:240
                                        ; implicit-def: $vgpr0_vgpr1_vgpr2_vgpr3
                                        ; implicit-def: $vgpr4_vgpr5
                                        ; implicit-def: $vgpr15
	s_xor_b64 exec, exec, s[0:1]
	s_cbranch_execnz .LBB1_158
; %bb.159:
	s_mov_b64 exec, s[8:9]
.LBB1_160:
	s_or_b64 exec, exec, s[2:3]
	;;#ASMSTART
	s_waitcnt vmcnt(0)
	;;#ASMEND
	scratch_load_dword a127, off, s32 offset:108 ; 4-byte Folded Reload
	scratch_load_dword a126, off, s32 offset:112 ; 4-byte Folded Reload
	;; [unrolled: 1-line block ×143, first 2 shown]
	v_readlane_b32 s30, v127, 30
	v_readlane_b32 s31, v127, 31
	;; [unrolled: 1-line block ×32, first 2 shown]
	s_or_saveexec_b64 s[0:1], -1
	scratch_load_dword v127, off, s32 offset:1572 ; 4-byte Folded Reload
	s_mov_b64 exec, s[0:1]
	s_waitcnt vmcnt(0)
	s_setpc_b64 s[30:31]
.Lfunc_end1:
	.size	_ZNK7ck_tile13FmhaFwdKernelINS_28BlockFmhaPipelineQRKSVSAsyncINS_24BlockFmhaPipelineProblemIDF16_DF16_DF16_ffDF16_hfDF16_fDF16_NS_13TileFmhaShapeINS_8sequenceIJLi128ELi128ELi32ELi128ELi32ELi128EEEENS4_IJLi4ELi1ELi1EEEENS4_IJLi32ELi32ELi16EEEES6_S7_Lb1EEELb0ENS_17ComposedAttentionILj4ELb1EEENS_30SimplifiedGenericAttentionMaskILb1EEELb0ENS_14TileFmhaTraitsILb1ELb0ELb1ELb1ELb1ELNS_22BlockAttentionBiasEnumE0ELb0ELb1ELb1ELNS_28BlockAttentionQuantScaleEnumE0ELin1ELb0ELb0EEEEENS_35BlockFmhaPipelineQXKSVSCustomPolicyILb1ELb1ELi3ELi3EEEEENS_17Default2DEpilogueINS_24Default2DEpilogueProblemIfDF16_Lb1ELb1ELb1EEEvEEE4run_ENSP_21FmhaFwdBatchModeKargsE, .Lfunc_end1-_ZNK7ck_tile13FmhaFwdKernelINS_28BlockFmhaPipelineQRKSVSAsyncINS_24BlockFmhaPipelineProblemIDF16_DF16_DF16_ffDF16_hfDF16_fDF16_NS_13TileFmhaShapeINS_8sequenceIJLi128ELi128ELi32ELi128ELi32ELi128EEEENS4_IJLi4ELi1ELi1EEEENS4_IJLi32ELi32ELi16EEEES6_S7_Lb1EEELb0ENS_17ComposedAttentionILj4ELb1EEENS_30SimplifiedGenericAttentionMaskILb1EEELb0ENS_14TileFmhaTraitsILb1ELb0ELb1ELb1ELb1ELNS_22BlockAttentionBiasEnumE0ELb0ELb1ELb1ELNS_28BlockAttentionQuantScaleEnumE0ELin1ELb0ELb0EEEEENS_35BlockFmhaPipelineQXKSVSCustomPolicyILb1ELb1ELi3ELi3EEEEENS_17Default2DEpilogueINS_24Default2DEpilogueProblemIfDF16_Lb1ELb1ELb1EEEvEEE4run_ENSP_21FmhaFwdBatchModeKargsE
                                        ; -- End function
	.section	.AMDGPU.csdata,"",@progbits
; Function info:
; codeLenInByte = 30404
; NumSgprs: 70
; NumVgprs: 128
; NumAgprs: 128
; TotalNumVgprs: 256
; ScratchSize: 1584
; MemoryBound: 0
	.section	.text._ZN7ck_tile6kentryINS_6gfx9_tELi2ENS_13FmhaFwdKernelINS_28BlockFmhaPipelineQRKSVSAsyncINS_24BlockFmhaPipelineProblemIDF16_DF16_DF16_ffDF16_hfDF16_fDF16_NS_13TileFmhaShapeINS_8sequenceIJLi128ELi128ELi32ELi128ELi32ELi128EEEENS6_IJLi4ELi1ELi1EEEENS6_IJLi32ELi32ELi16EEEES8_S9_Lb1EEELb0ENS_17ComposedAttentionILj4ELb1EEENS_30SimplifiedGenericAttentionMaskILb1EEELb0ENS_14TileFmhaTraitsILb1ELb0ELb1ELb1ELb1ELNS_22BlockAttentionBiasEnumE0ELb0ELb1ELb1ELNS_28BlockAttentionQuantScaleEnumE0ELin1ELb0ELb0EEEEENS_35BlockFmhaPipelineQXKSVSCustomPolicyILb1ELb1ELi3ELi3EEEEENS_17Default2DEpilogueINS_24Default2DEpilogueProblemIfDF16_Lb1ELb1ELb1EEEvEEEEJNSR_21FmhaFwdBatchModeKargsEEEENSt9enable_ifIXnt26kattr_no_packed_fp32_ops_vIT_EEvE4typeEDpT2_,"axG",@progbits,_ZN7ck_tile6kentryINS_6gfx9_tELi2ENS_13FmhaFwdKernelINS_28BlockFmhaPipelineQRKSVSAsyncINS_24BlockFmhaPipelineProblemIDF16_DF16_DF16_ffDF16_hfDF16_fDF16_NS_13TileFmhaShapeINS_8sequenceIJLi128ELi128ELi32ELi128ELi32ELi128EEEENS6_IJLi4ELi1ELi1EEEENS6_IJLi32ELi32ELi16EEEES8_S9_Lb1EEELb0ENS_17ComposedAttentionILj4ELb1EEENS_30SimplifiedGenericAttentionMaskILb1EEELb0ENS_14TileFmhaTraitsILb1ELb0ELb1ELb1ELb1ELNS_22BlockAttentionBiasEnumE0ELb0ELb1ELb1ELNS_28BlockAttentionQuantScaleEnumE0ELin1ELb0ELb0EEEEENS_35BlockFmhaPipelineQXKSVSCustomPolicyILb1ELb1ELi3ELi3EEEEENS_17Default2DEpilogueINS_24Default2DEpilogueProblemIfDF16_Lb1ELb1ELb1EEEvEEEEJNSR_21FmhaFwdBatchModeKargsEEEENSt9enable_ifIXnt26kattr_no_packed_fp32_ops_vIT_EEvE4typeEDpT2_,comdat
	.protected	_ZN7ck_tile6kentryINS_6gfx9_tELi2ENS_13FmhaFwdKernelINS_28BlockFmhaPipelineQRKSVSAsyncINS_24BlockFmhaPipelineProblemIDF16_DF16_DF16_ffDF16_hfDF16_fDF16_NS_13TileFmhaShapeINS_8sequenceIJLi128ELi128ELi32ELi128ELi32ELi128EEEENS6_IJLi4ELi1ELi1EEEENS6_IJLi32ELi32ELi16EEEES8_S9_Lb1EEELb0ENS_17ComposedAttentionILj4ELb1EEENS_30SimplifiedGenericAttentionMaskILb1EEELb0ENS_14TileFmhaTraitsILb1ELb0ELb1ELb1ELb1ELNS_22BlockAttentionBiasEnumE0ELb0ELb1ELb1ELNS_28BlockAttentionQuantScaleEnumE0ELin1ELb0ELb0EEEEENS_35BlockFmhaPipelineQXKSVSCustomPolicyILb1ELb1ELi3ELi3EEEEENS_17Default2DEpilogueINS_24Default2DEpilogueProblemIfDF16_Lb1ELb1ELb1EEEvEEEEJNSR_21FmhaFwdBatchModeKargsEEEENSt9enable_ifIXnt26kattr_no_packed_fp32_ops_vIT_EEvE4typeEDpT2_ ; -- Begin function _ZN7ck_tile6kentryINS_6gfx9_tELi2ENS_13FmhaFwdKernelINS_28BlockFmhaPipelineQRKSVSAsyncINS_24BlockFmhaPipelineProblemIDF16_DF16_DF16_ffDF16_hfDF16_fDF16_NS_13TileFmhaShapeINS_8sequenceIJLi128ELi128ELi32ELi128ELi32ELi128EEEENS6_IJLi4ELi1ELi1EEEENS6_IJLi32ELi32ELi16EEEES8_S9_Lb1EEELb0ENS_17ComposedAttentionILj4ELb1EEENS_30SimplifiedGenericAttentionMaskILb1EEELb0ENS_14TileFmhaTraitsILb1ELb0ELb1ELb1ELb1ELNS_22BlockAttentionBiasEnumE0ELb0ELb1ELb1ELNS_28BlockAttentionQuantScaleEnumE0ELin1ELb0ELb0EEEEENS_35BlockFmhaPipelineQXKSVSCustomPolicyILb1ELb1ELi3ELi3EEEEENS_17Default2DEpilogueINS_24Default2DEpilogueProblemIfDF16_Lb1ELb1ELb1EEEvEEEEJNSR_21FmhaFwdBatchModeKargsEEEENSt9enable_ifIXnt26kattr_no_packed_fp32_ops_vIT_EEvE4typeEDpT2_
	.globl	_ZN7ck_tile6kentryINS_6gfx9_tELi2ENS_13FmhaFwdKernelINS_28BlockFmhaPipelineQRKSVSAsyncINS_24BlockFmhaPipelineProblemIDF16_DF16_DF16_ffDF16_hfDF16_fDF16_NS_13TileFmhaShapeINS_8sequenceIJLi128ELi128ELi32ELi128ELi32ELi128EEEENS6_IJLi4ELi1ELi1EEEENS6_IJLi32ELi32ELi16EEEES8_S9_Lb1EEELb0ENS_17ComposedAttentionILj4ELb1EEENS_30SimplifiedGenericAttentionMaskILb1EEELb0ENS_14TileFmhaTraitsILb1ELb0ELb1ELb1ELb1ELNS_22BlockAttentionBiasEnumE0ELb0ELb1ELb1ELNS_28BlockAttentionQuantScaleEnumE0ELin1ELb0ELb0EEEEENS_35BlockFmhaPipelineQXKSVSCustomPolicyILb1ELb1ELi3ELi3EEEEENS_17Default2DEpilogueINS_24Default2DEpilogueProblemIfDF16_Lb1ELb1ELb1EEEvEEEEJNSR_21FmhaFwdBatchModeKargsEEEENSt9enable_ifIXnt26kattr_no_packed_fp32_ops_vIT_EEvE4typeEDpT2_
	.p2align	8
	.type	_ZN7ck_tile6kentryINS_6gfx9_tELi2ENS_13FmhaFwdKernelINS_28BlockFmhaPipelineQRKSVSAsyncINS_24BlockFmhaPipelineProblemIDF16_DF16_DF16_ffDF16_hfDF16_fDF16_NS_13TileFmhaShapeINS_8sequenceIJLi128ELi128ELi32ELi128ELi32ELi128EEEENS6_IJLi4ELi1ELi1EEEENS6_IJLi32ELi32ELi16EEEES8_S9_Lb1EEELb0ENS_17ComposedAttentionILj4ELb1EEENS_30SimplifiedGenericAttentionMaskILb1EEELb0ENS_14TileFmhaTraitsILb1ELb0ELb1ELb1ELb1ELNS_22BlockAttentionBiasEnumE0ELb0ELb1ELb1ELNS_28BlockAttentionQuantScaleEnumE0ELin1ELb0ELb0EEEEENS_35BlockFmhaPipelineQXKSVSCustomPolicyILb1ELb1ELi3ELi3EEEEENS_17Default2DEpilogueINS_24Default2DEpilogueProblemIfDF16_Lb1ELb1ELb1EEEvEEEEJNSR_21FmhaFwdBatchModeKargsEEEENSt9enable_ifIXnt26kattr_no_packed_fp32_ops_vIT_EEvE4typeEDpT2_,@function
_ZN7ck_tile6kentryINS_6gfx9_tELi2ENS_13FmhaFwdKernelINS_28BlockFmhaPipelineQRKSVSAsyncINS_24BlockFmhaPipelineProblemIDF16_DF16_DF16_ffDF16_hfDF16_fDF16_NS_13TileFmhaShapeINS_8sequenceIJLi128ELi128ELi32ELi128ELi32ELi128EEEENS6_IJLi4ELi1ELi1EEEENS6_IJLi32ELi32ELi16EEEES8_S9_Lb1EEELb0ENS_17ComposedAttentionILj4ELb1EEENS_30SimplifiedGenericAttentionMaskILb1EEELb0ENS_14TileFmhaTraitsILb1ELb0ELb1ELb1ELb1ELNS_22BlockAttentionBiasEnumE0ELb0ELb1ELb1ELNS_28BlockAttentionQuantScaleEnumE0ELin1ELb0ELb0EEEEENS_35BlockFmhaPipelineQXKSVSCustomPolicyILb1ELb1ELi3ELi3EEEEENS_17Default2DEpilogueINS_24Default2DEpilogueProblemIfDF16_Lb1ELb1ELb1EEEvEEEEJNSR_21FmhaFwdBatchModeKargsEEEENSt9enable_ifIXnt26kattr_no_packed_fp32_ops_vIT_EEvE4typeEDpT2_: ; @_ZN7ck_tile6kentryINS_6gfx9_tELi2ENS_13FmhaFwdKernelINS_28BlockFmhaPipelineQRKSVSAsyncINS_24BlockFmhaPipelineProblemIDF16_DF16_DF16_ffDF16_hfDF16_fDF16_NS_13TileFmhaShapeINS_8sequenceIJLi128ELi128ELi32ELi128ELi32ELi128EEEENS6_IJLi4ELi1ELi1EEEENS6_IJLi32ELi32ELi16EEEES8_S9_Lb1EEELb0ENS_17ComposedAttentionILj4ELb1EEENS_30SimplifiedGenericAttentionMaskILb1EEELb0ENS_14TileFmhaTraitsILb1ELb0ELb1ELb1ELb1ELNS_22BlockAttentionBiasEnumE0ELb0ELb1ELb1ELNS_28BlockAttentionQuantScaleEnumE0ELin1ELb0ELb0EEEEENS_35BlockFmhaPipelineQXKSVSCustomPolicyILb1ELb1ELi3ELi3EEEEENS_17Default2DEpilogueINS_24Default2DEpilogueProblemIfDF16_Lb1ELb1ELb1EEEvEEEEJNSR_21FmhaFwdBatchModeKargsEEEENSt9enable_ifIXnt26kattr_no_packed_fp32_ops_vIT_EEvE4typeEDpT2_
; %bb.0:
	s_load_dwordx8 s[36:43], s[0:1], 0x0
	s_load_dwordx2 s[6:7], s[0:1], 0x20
	s_load_dwordx16 s[16:31], s[0:1], 0x28
	s_load_dwordx4 s[56:59], s[0:1], 0xa8
	s_load_dword s5, s[0:1], 0x78
	s_load_dwordx4 s[52:55], s[0:1], 0x68
	s_load_dwordx8 s[44:51], s[0:1], 0x80
	s_load_dwordx8 s[8:15], s[0:1], 0xb8
	s_load_dword s33, s[0:1], 0xa0
	s_load_dword s34, s[0:1], 0xd8
	s_load_dwordx4 s[60:63], s[0:1], 0xe0
	s_mov_b32 s32, 0
	s_waitcnt lgkmcnt(0)
	v_mov_b32_e32 v1, s57
	v_mov_b32_e32 v6, s11
	s_add_i32 s11, s32, 0x68
	v_mov_b32_e32 v2, s63
	scratch_store_dword off, v2, s11
	s_add_i32 s11, s32, 0x64
	v_mov_b32_e32 v2, s62
	scratch_store_dword off, v2, s11
	;; [unrolled: 3-line block ×7, first 2 shown]
	s_add_i32 s8, s32, 40
	scratch_store_short off, v1, s8
	s_add_i32 s8, s32, 36
	v_mov_b32_e32 v1, s56
	scratch_store_dword off, v1, s8
	s_add_i32 s8, s32, 32
	v_mov_b32_e32 v1, s33
	scratch_store_short off, v1, s8
	s_add_i32 s8, s32, 28
	v_mov_b32_e32 v1, s51
	scratch_store_dword off, v1, s8
	s_add_i32 s8, s32, 24
	v_mov_b32_e32 v1, s50
	scratch_store_dword off, v1, s8
	;; [unrolled: 3-line block ×4, first 2 shown]
	s_add_i32 s8, s32, 8
	v_mov_b64_e32 v[2:3], s[46:47]
	scratch_store_dwordx2 off, v[2:3], s8
	s_add_i32 s8, s32, 4
	v_mov_b32_e32 v1, s45
	scratch_store_dword off, v1, s8
	v_mov_b32_e32 v1, s44
	v_mov_b32_e32 v2, s13
	;; [unrolled: 1-line block ×5, first 2 shown]
	s_add_i32 s8, s32, 0x4c
	v_mov_b32_e32 v7, s12
	scratch_store_dword off, v1, s32
	scratch_store_dwordx4 off, v[2:5], s8
	s_add_i32 s8, s32, 0x44
	scratch_store_dwordx2 off, v[6:7], s8
	s_add_i32 s8, s32, 60
	v_mov_b32_e32 v2, s9
	v_mov_b32_e32 v3, s10
	v_lshrrev_b16_e64 v8, 8, s57
	scratch_store_dwordx2 off, v[2:3], s8
	s_add_i32 s8, s32, 44
	scratch_store_short off, v8, s8
	s_add_u32 s8, s0, 0xf0
	s_addc_u32 s9, s1, 0
	s_mov_b32 s12, s2
	s_mov_b32 s13, s3
	;; [unrolled: 1-line block ×3, first 2 shown]
	v_mov_b32_e32 v31, v0
	v_mov_b32_e32 v0, s36
	;; [unrolled: 1-line block ×32, first 2 shown]
	s_getpc_b64 s[0:1]
	s_add_u32 s0, s0, _ZNK7ck_tile13FmhaFwdKernelINS_28BlockFmhaPipelineQRKSVSAsyncINS_24BlockFmhaPipelineProblemIDF16_DF16_DF16_ffDF16_hfDF16_fDF16_NS_13TileFmhaShapeINS_8sequenceIJLi128ELi128ELi32ELi128ELi32ELi128EEEENS4_IJLi4ELi1ELi1EEEENS4_IJLi32ELi32ELi16EEEES6_S7_Lb1EEELb0ENS_17ComposedAttentionILj4ELb1EEENS_30SimplifiedGenericAttentionMaskILb1EEELb0ENS_14TileFmhaTraitsILb1ELb0ELb1ELb1ELb1ELNS_22BlockAttentionBiasEnumE0ELb0ELb1ELb1ELNS_28BlockAttentionQuantScaleEnumE0ELin1ELb0ELb0EEEEENS_35BlockFmhaPipelineQXKSVSCustomPolicyILb1ELb1ELi3ELi3EEEEENS_17Default2DEpilogueINS_24Default2DEpilogueProblemIfDF16_Lb1ELb1ELb1EEEvEEE4run_ENSP_21FmhaFwdBatchModeKargsE@rel32@lo+4
	s_addc_u32 s1, s1, _ZNK7ck_tile13FmhaFwdKernelINS_28BlockFmhaPipelineQRKSVSAsyncINS_24BlockFmhaPipelineProblemIDF16_DF16_DF16_ffDF16_hfDF16_fDF16_NS_13TileFmhaShapeINS_8sequenceIJLi128ELi128ELi32ELi128ELi32ELi128EEEENS4_IJLi4ELi1ELi1EEEENS4_IJLi32ELi32ELi16EEEES6_S7_Lb1EEELb0ENS_17ComposedAttentionILj4ELb1EEENS_30SimplifiedGenericAttentionMaskILb1EEELb0ENS_14TileFmhaTraitsILb1ELb0ELb1ELb1ELb1ELNS_22BlockAttentionBiasEnumE0ELb0ELb1ELb1ELNS_28BlockAttentionQuantScaleEnumE0ELin1ELb0ELb0EEEEENS_35BlockFmhaPipelineQXKSVSCustomPolicyILb1ELb1ELi3ELi3EEEEENS_17Default2DEpilogueINS_24Default2DEpilogueProblemIfDF16_Lb1ELb1ELb1EEEvEEE4run_ENSP_21FmhaFwdBatchModeKargsE@rel32@hi+12
	s_swappc_b64 s[30:31], s[0:1]
	s_endpgm
	.section	.rodata,"a",@progbits
	.p2align	6, 0x0
	.amdhsa_kernel _ZN7ck_tile6kentryINS_6gfx9_tELi2ENS_13FmhaFwdKernelINS_28BlockFmhaPipelineQRKSVSAsyncINS_24BlockFmhaPipelineProblemIDF16_DF16_DF16_ffDF16_hfDF16_fDF16_NS_13TileFmhaShapeINS_8sequenceIJLi128ELi128ELi32ELi128ELi32ELi128EEEENS6_IJLi4ELi1ELi1EEEENS6_IJLi32ELi32ELi16EEEES8_S9_Lb1EEELb0ENS_17ComposedAttentionILj4ELb1EEENS_30SimplifiedGenericAttentionMaskILb1EEELb0ENS_14TileFmhaTraitsILb1ELb0ELb1ELb1ELb1ELNS_22BlockAttentionBiasEnumE0ELb0ELb1ELb1ELNS_28BlockAttentionQuantScaleEnumE0ELin1ELb0ELb0EEEEENS_35BlockFmhaPipelineQXKSVSCustomPolicyILb1ELb1ELi3ELi3EEEEENS_17Default2DEpilogueINS_24Default2DEpilogueProblemIfDF16_Lb1ELb1ELb1EEEvEEEEJNSR_21FmhaFwdBatchModeKargsEEEENSt9enable_ifIXnt26kattr_no_packed_fp32_ops_vIT_EEvE4typeEDpT2_
		.amdhsa_group_segment_fixed_size 31776
		.amdhsa_private_segment_fixed_size 1584
		.amdhsa_kernarg_size 496
		.amdhsa_user_sgpr_count 2
		.amdhsa_user_sgpr_dispatch_ptr 0
		.amdhsa_user_sgpr_queue_ptr 0
		.amdhsa_user_sgpr_kernarg_segment_ptr 1
		.amdhsa_user_sgpr_dispatch_id 0
		.amdhsa_user_sgpr_kernarg_preload_length 0
		.amdhsa_user_sgpr_kernarg_preload_offset 0
		.amdhsa_user_sgpr_private_segment_size 0
		.amdhsa_uses_dynamic_stack 0
		.amdhsa_enable_private_segment 1
		.amdhsa_system_sgpr_workgroup_id_x 1
		.amdhsa_system_sgpr_workgroup_id_y 1
		.amdhsa_system_sgpr_workgroup_id_z 1
		.amdhsa_system_sgpr_workgroup_info 0
		.amdhsa_system_vgpr_workitem_id 0
		.amdhsa_next_free_vgpr 256
		.amdhsa_next_free_sgpr 64
		.amdhsa_accum_offset 128
		.amdhsa_reserve_vcc 1
		.amdhsa_float_round_mode_32 0
		.amdhsa_float_round_mode_16_64 0
		.amdhsa_float_denorm_mode_32 0
		.amdhsa_float_denorm_mode_16_64 3
		.amdhsa_dx10_clamp 1
		.amdhsa_ieee_mode 1
		.amdhsa_fp16_overflow 0
		.amdhsa_tg_split 0
		.amdhsa_exception_fp_ieee_invalid_op 0
		.amdhsa_exception_fp_denorm_src 0
		.amdhsa_exception_fp_ieee_div_zero 0
		.amdhsa_exception_fp_ieee_overflow 0
		.amdhsa_exception_fp_ieee_underflow 0
		.amdhsa_exception_fp_ieee_inexact 0
		.amdhsa_exception_int_div_zero 0
	.end_amdhsa_kernel
	.section	.text._ZN7ck_tile6kentryINS_6gfx9_tELi2ENS_13FmhaFwdKernelINS_28BlockFmhaPipelineQRKSVSAsyncINS_24BlockFmhaPipelineProblemIDF16_DF16_DF16_ffDF16_hfDF16_fDF16_NS_13TileFmhaShapeINS_8sequenceIJLi128ELi128ELi32ELi128ELi32ELi128EEEENS6_IJLi4ELi1ELi1EEEENS6_IJLi32ELi32ELi16EEEES8_S9_Lb1EEELb0ENS_17ComposedAttentionILj4ELb1EEENS_30SimplifiedGenericAttentionMaskILb1EEELb0ENS_14TileFmhaTraitsILb1ELb0ELb1ELb1ELb1ELNS_22BlockAttentionBiasEnumE0ELb0ELb1ELb1ELNS_28BlockAttentionQuantScaleEnumE0ELin1ELb0ELb0EEEEENS_35BlockFmhaPipelineQXKSVSCustomPolicyILb1ELb1ELi3ELi3EEEEENS_17Default2DEpilogueINS_24Default2DEpilogueProblemIfDF16_Lb1ELb1ELb1EEEvEEEEJNSR_21FmhaFwdBatchModeKargsEEEENSt9enable_ifIXnt26kattr_no_packed_fp32_ops_vIT_EEvE4typeEDpT2_,"axG",@progbits,_ZN7ck_tile6kentryINS_6gfx9_tELi2ENS_13FmhaFwdKernelINS_28BlockFmhaPipelineQRKSVSAsyncINS_24BlockFmhaPipelineProblemIDF16_DF16_DF16_ffDF16_hfDF16_fDF16_NS_13TileFmhaShapeINS_8sequenceIJLi128ELi128ELi32ELi128ELi32ELi128EEEENS6_IJLi4ELi1ELi1EEEENS6_IJLi32ELi32ELi16EEEES8_S9_Lb1EEELb0ENS_17ComposedAttentionILj4ELb1EEENS_30SimplifiedGenericAttentionMaskILb1EEELb0ENS_14TileFmhaTraitsILb1ELb0ELb1ELb1ELb1ELNS_22BlockAttentionBiasEnumE0ELb0ELb1ELb1ELNS_28BlockAttentionQuantScaleEnumE0ELin1ELb0ELb0EEEEENS_35BlockFmhaPipelineQXKSVSCustomPolicyILb1ELb1ELi3ELi3EEEEENS_17Default2DEpilogueINS_24Default2DEpilogueProblemIfDF16_Lb1ELb1ELb1EEEvEEEEJNSR_21FmhaFwdBatchModeKargsEEEENSt9enable_ifIXnt26kattr_no_packed_fp32_ops_vIT_EEvE4typeEDpT2_,comdat
.Lfunc_end2:
	.size	_ZN7ck_tile6kentryINS_6gfx9_tELi2ENS_13FmhaFwdKernelINS_28BlockFmhaPipelineQRKSVSAsyncINS_24BlockFmhaPipelineProblemIDF16_DF16_DF16_ffDF16_hfDF16_fDF16_NS_13TileFmhaShapeINS_8sequenceIJLi128ELi128ELi32ELi128ELi32ELi128EEEENS6_IJLi4ELi1ELi1EEEENS6_IJLi32ELi32ELi16EEEES8_S9_Lb1EEELb0ENS_17ComposedAttentionILj4ELb1EEENS_30SimplifiedGenericAttentionMaskILb1EEELb0ENS_14TileFmhaTraitsILb1ELb0ELb1ELb1ELb1ELNS_22BlockAttentionBiasEnumE0ELb0ELb1ELb1ELNS_28BlockAttentionQuantScaleEnumE0ELin1ELb0ELb0EEEEENS_35BlockFmhaPipelineQXKSVSCustomPolicyILb1ELb1ELi3ELi3EEEEENS_17Default2DEpilogueINS_24Default2DEpilogueProblemIfDF16_Lb1ELb1ELb1EEEvEEEEJNSR_21FmhaFwdBatchModeKargsEEEENSt9enable_ifIXnt26kattr_no_packed_fp32_ops_vIT_EEvE4typeEDpT2_, .Lfunc_end2-_ZN7ck_tile6kentryINS_6gfx9_tELi2ENS_13FmhaFwdKernelINS_28BlockFmhaPipelineQRKSVSAsyncINS_24BlockFmhaPipelineProblemIDF16_DF16_DF16_ffDF16_hfDF16_fDF16_NS_13TileFmhaShapeINS_8sequenceIJLi128ELi128ELi32ELi128ELi32ELi128EEEENS6_IJLi4ELi1ELi1EEEENS6_IJLi32ELi32ELi16EEEES8_S9_Lb1EEELb0ENS_17ComposedAttentionILj4ELb1EEENS_30SimplifiedGenericAttentionMaskILb1EEELb0ENS_14TileFmhaTraitsILb1ELb0ELb1ELb1ELb1ELNS_22BlockAttentionBiasEnumE0ELb0ELb1ELb1ELNS_28BlockAttentionQuantScaleEnumE0ELin1ELb0ELb0EEEEENS_35BlockFmhaPipelineQXKSVSCustomPolicyILb1ELb1ELi3ELi3EEEEENS_17Default2DEpilogueINS_24Default2DEpilogueProblemIfDF16_Lb1ELb1ELb1EEEvEEEEJNSR_21FmhaFwdBatchModeKargsEEEENSt9enable_ifIXnt26kattr_no_packed_fp32_ops_vIT_EEvE4typeEDpT2_
                                        ; -- End function
	.section	.AMDGPU.csdata,"",@progbits
; Kernel info:
; codeLenInByte = 656
; NumSgprs: 70
; NumVgprs: 128
; NumAgprs: 128
; TotalNumVgprs: 256
; ScratchSize: 1584
; MemoryBound: 0
; FloatMode: 192
; IeeeMode: 1
; LDSByteSize: 31776 bytes/workgroup (compile time only)
; SGPRBlocks: 8
; VGPRBlocks: 31
; NumSGPRsForWavesPerEU: 70
; NumVGPRsForWavesPerEU: 256
; AccumOffset: 128
; Occupancy: 2
; WaveLimiterHint : 0
; COMPUTE_PGM_RSRC2:SCRATCH_EN: 1
; COMPUTE_PGM_RSRC2:USER_SGPR: 2
; COMPUTE_PGM_RSRC2:TRAP_HANDLER: 0
; COMPUTE_PGM_RSRC2:TGID_X_EN: 1
; COMPUTE_PGM_RSRC2:TGID_Y_EN: 1
; COMPUTE_PGM_RSRC2:TGID_Z_EN: 1
; COMPUTE_PGM_RSRC2:TIDIG_COMP_CNT: 0
; COMPUTE_PGM_RSRC3_GFX90A:ACCUM_OFFSET: 31
; COMPUTE_PGM_RSRC3_GFX90A:TG_SPLIT: 0
	.text
	.p2alignl 6, 3212836864
	.fill 256, 4, 3212836864
	.type	__hip_cuid_9f15adedc5cddfe7,@object ; @__hip_cuid_9f15adedc5cddfe7
	.section	.bss,"aw",@nobits
	.globl	__hip_cuid_9f15adedc5cddfe7
__hip_cuid_9f15adedc5cddfe7:
	.byte	0                               ; 0x0
	.size	__hip_cuid_9f15adedc5cddfe7, 1

	.ident	"AMD clang version 19.0.0git (https://github.com/RadeonOpenCompute/llvm-project roc-6.4.0 25133 c7fe45cf4b819c5991fe208aaa96edf142730f1d)"
	.section	".note.GNU-stack","",@progbits
	.addrsig
	.addrsig_sym __hip_cuid_9f15adedc5cddfe7
	.amdgpu_metadata
---
amdhsa.kernels:
  - .agpr_count:     0
    .args:           []
    .group_segment_fixed_size: 0
    .kernarg_segment_align: 4
    .kernarg_segment_size: 0
    .language:       OpenCL C
    .language_version:
      - 2
      - 0
    .max_flat_workgroup_size: 1024
    .name:           _ZN7ck_tileL11flush_cacheEv
    .private_segment_fixed_size: 0
    .sgpr_count:     6
    .sgpr_spill_count: 0
    .symbol:         _ZN7ck_tileL11flush_cacheEv.kd
    .uses_dynamic_stack: false
    .vgpr_count:     0
    .vgpr_spill_count: 0
    .wavefront_size: 64
  - .agpr_count:     128
    .args:
      - .offset:         0
        .size:           240
        .value_kind:     by_value
      - .offset:         240
        .size:           4
        .value_kind:     hidden_block_count_x
      - .offset:         244
        .size:           4
        .value_kind:     hidden_block_count_y
      - .offset:         248
        .size:           4
        .value_kind:     hidden_block_count_z
      - .offset:         252
        .size:           2
        .value_kind:     hidden_group_size_x
      - .offset:         254
        .size:           2
        .value_kind:     hidden_group_size_y
      - .offset:         256
        .size:           2
        .value_kind:     hidden_group_size_z
      - .offset:         258
        .size:           2
        .value_kind:     hidden_remainder_x
      - .offset:         260
        .size:           2
        .value_kind:     hidden_remainder_y
      - .offset:         262
        .size:           2
        .value_kind:     hidden_remainder_z
      - .offset:         280
        .size:           8
        .value_kind:     hidden_global_offset_x
      - .offset:         288
        .size:           8
        .value_kind:     hidden_global_offset_y
      - .offset:         296
        .size:           8
        .value_kind:     hidden_global_offset_z
      - .offset:         304
        .size:           2
        .value_kind:     hidden_grid_dims
    .group_segment_fixed_size: 31776
    .kernarg_segment_align: 8
    .kernarg_segment_size: 496
    .language:       OpenCL C
    .language_version:
      - 2
      - 0
    .max_flat_workgroup_size: 256
    .name:           _ZN7ck_tile6kentryINS_6gfx9_tELi2ENS_13FmhaFwdKernelINS_28BlockFmhaPipelineQRKSVSAsyncINS_24BlockFmhaPipelineProblemIDF16_DF16_DF16_ffDF16_hfDF16_fDF16_NS_13TileFmhaShapeINS_8sequenceIJLi128ELi128ELi32ELi128ELi32ELi128EEEENS6_IJLi4ELi1ELi1EEEENS6_IJLi32ELi32ELi16EEEES8_S9_Lb1EEELb0ENS_17ComposedAttentionILj4ELb1EEENS_30SimplifiedGenericAttentionMaskILb1EEELb0ENS_14TileFmhaTraitsILb1ELb0ELb1ELb1ELb1ELNS_22BlockAttentionBiasEnumE0ELb0ELb1ELb1ELNS_28BlockAttentionQuantScaleEnumE0ELin1ELb0ELb0EEEEENS_35BlockFmhaPipelineQXKSVSCustomPolicyILb1ELb1ELi3ELi3EEEEENS_17Default2DEpilogueINS_24Default2DEpilogueProblemIfDF16_Lb1ELb1ELb1EEEvEEEEJNSR_21FmhaFwdBatchModeKargsEEEENSt9enable_ifIXnt26kattr_no_packed_fp32_ops_vIT_EEvE4typeEDpT2_
    .private_segment_fixed_size: 1584
    .sgpr_count:     70
    .sgpr_spill_count: 0
    .symbol:         _ZN7ck_tile6kentryINS_6gfx9_tELi2ENS_13FmhaFwdKernelINS_28BlockFmhaPipelineQRKSVSAsyncINS_24BlockFmhaPipelineProblemIDF16_DF16_DF16_ffDF16_hfDF16_fDF16_NS_13TileFmhaShapeINS_8sequenceIJLi128ELi128ELi32ELi128ELi32ELi128EEEENS6_IJLi4ELi1ELi1EEEENS6_IJLi32ELi32ELi16EEEES8_S9_Lb1EEELb0ENS_17ComposedAttentionILj4ELb1EEENS_30SimplifiedGenericAttentionMaskILb1EEELb0ENS_14TileFmhaTraitsILb1ELb0ELb1ELb1ELb1ELNS_22BlockAttentionBiasEnumE0ELb0ELb1ELb1ELNS_28BlockAttentionQuantScaleEnumE0ELin1ELb0ELb0EEEEENS_35BlockFmhaPipelineQXKSVSCustomPolicyILb1ELb1ELi3ELi3EEEEENS_17Default2DEpilogueINS_24Default2DEpilogueProblemIfDF16_Lb1ELb1ELb1EEEvEEEEJNSR_21FmhaFwdBatchModeKargsEEEENSt9enable_ifIXnt26kattr_no_packed_fp32_ops_vIT_EEvE4typeEDpT2_.kd
    .uses_dynamic_stack: false
    .vgpr_count:     256
    .vgpr_spill_count: 0
    .wavefront_size: 64
amdhsa.target:   amdgcn-amd-amdhsa--gfx942
amdhsa.version:
  - 1
  - 2
...

	.end_amdgpu_metadata
